;; amdgpu-corpus repo=ROCm/rocFFT kind=compiled arch=gfx950 opt=O3
	.text
	.amdgcn_target "amdgcn-amd-amdhsa--gfx950"
	.amdhsa_code_object_version 6
	.protected	fft_rtc_fwd_len714_factors_3_17_7_2_wgs_51_tpt_51_halfLds_sp_ip_CI_unitstride_sbrr_R2C_dirReg ; -- Begin function fft_rtc_fwd_len714_factors_3_17_7_2_wgs_51_tpt_51_halfLds_sp_ip_CI_unitstride_sbrr_R2C_dirReg
	.globl	fft_rtc_fwd_len714_factors_3_17_7_2_wgs_51_tpt_51_halfLds_sp_ip_CI_unitstride_sbrr_R2C_dirReg
	.p2align	8
	.type	fft_rtc_fwd_len714_factors_3_17_7_2_wgs_51_tpt_51_halfLds_sp_ip_CI_unitstride_sbrr_R2C_dirReg,@function
fft_rtc_fwd_len714_factors_3_17_7_2_wgs_51_tpt_51_halfLds_sp_ip_CI_unitstride_sbrr_R2C_dirReg: ; @fft_rtc_fwd_len714_factors_3_17_7_2_wgs_51_tpt_51_halfLds_sp_ip_CI_unitstride_sbrr_R2C_dirReg
; %bb.0:
	s_load_dwordx2 s[8:9], s[0:1], 0x50
	s_load_dwordx4 s[4:7], s[0:1], 0x0
	s_load_dwordx2 s[10:11], s[0:1], 0x18
	v_mul_u32_u24_e32 v1, 0x506, v0
	v_add_u32_sdwa v6, s2, v1 dst_sel:DWORD dst_unused:UNUSED_PAD src0_sel:DWORD src1_sel:WORD_1
	v_mov_b32_e32 v4, 0
	s_waitcnt lgkmcnt(0)
	v_cmp_lt_u64_e64 s[2:3], s[6:7], 2
	v_mov_b32_e32 v7, v4
	s_and_b64 vcc, exec, s[2:3]
	v_mov_b64_e32 v[2:3], 0
	s_cbranch_vccnz .LBB0_8
; %bb.1:
	s_load_dwordx2 s[2:3], s[0:1], 0x10
	s_add_u32 s12, s10, 8
	s_addc_u32 s13, s11, 0
	s_mov_b64 s[14:15], 1
	v_mov_b64_e32 v[2:3], 0
	s_waitcnt lgkmcnt(0)
	s_add_u32 s16, s2, 8
	s_addc_u32 s17, s3, 0
.LBB0_2:                                ; =>This Inner Loop Header: Depth=1
	s_load_dwordx2 s[18:19], s[16:17], 0x0
                                        ; implicit-def: $vgpr8_vgpr9
	s_waitcnt lgkmcnt(0)
	v_or_b32_e32 v5, s19, v7
	v_cmp_ne_u64_e32 vcc, 0, v[4:5]
	s_and_saveexec_b64 s[2:3], vcc
	s_xor_b64 s[20:21], exec, s[2:3]
	s_cbranch_execz .LBB0_4
; %bb.3:                                ;   in Loop: Header=BB0_2 Depth=1
	v_cvt_f32_u32_e32 v1, s18
	v_cvt_f32_u32_e32 v5, s19
	s_sub_u32 s2, 0, s18
	s_subb_u32 s3, 0, s19
	v_fmac_f32_e32 v1, 0x4f800000, v5
	v_rcp_f32_e32 v1, v1
	s_nop 0
	v_mul_f32_e32 v1, 0x5f7ffffc, v1
	v_mul_f32_e32 v5, 0x2f800000, v1
	v_trunc_f32_e32 v5, v5
	v_fmac_f32_e32 v1, 0xcf800000, v5
	v_cvt_u32_f32_e32 v5, v5
	v_cvt_u32_f32_e32 v1, v1
	v_mul_lo_u32 v8, s2, v5
	v_mul_hi_u32 v10, s2, v1
	v_mul_lo_u32 v9, s3, v1
	v_add_u32_e32 v10, v10, v8
	v_mul_lo_u32 v12, s2, v1
	v_add_u32_e32 v13, v10, v9
	v_mul_hi_u32 v8, v1, v12
	v_mul_hi_u32 v11, v1, v13
	v_mul_lo_u32 v10, v1, v13
	v_mov_b32_e32 v9, v4
	v_lshl_add_u64 v[8:9], v[8:9], 0, v[10:11]
	v_mul_hi_u32 v11, v5, v12
	v_mul_lo_u32 v12, v5, v12
	v_add_co_u32_e32 v8, vcc, v8, v12
	v_mul_hi_u32 v10, v5, v13
	s_nop 0
	v_addc_co_u32_e32 v8, vcc, v9, v11, vcc
	v_mov_b32_e32 v9, v4
	s_nop 0
	v_addc_co_u32_e32 v11, vcc, 0, v10, vcc
	v_mul_lo_u32 v10, v5, v13
	v_lshl_add_u64 v[8:9], v[8:9], 0, v[10:11]
	v_add_co_u32_e32 v1, vcc, v1, v8
	v_mul_lo_u32 v10, s2, v1
	s_nop 0
	v_addc_co_u32_e32 v5, vcc, v5, v9, vcc
	v_mul_lo_u32 v8, s2, v5
	v_mul_hi_u32 v9, s2, v1
	v_add_u32_e32 v8, v9, v8
	v_mul_lo_u32 v9, s3, v1
	v_add_u32_e32 v12, v8, v9
	v_mul_hi_u32 v14, v5, v10
	v_mul_lo_u32 v15, v5, v10
	v_mul_hi_u32 v9, v1, v12
	v_mul_lo_u32 v8, v1, v12
	v_mul_hi_u32 v10, v1, v10
	v_mov_b32_e32 v11, v4
	v_lshl_add_u64 v[8:9], v[10:11], 0, v[8:9]
	v_add_co_u32_e32 v8, vcc, v8, v15
	v_mul_hi_u32 v13, v5, v12
	s_nop 0
	v_addc_co_u32_e32 v8, vcc, v9, v14, vcc
	v_mul_lo_u32 v10, v5, v12
	s_nop 0
	v_addc_co_u32_e32 v11, vcc, 0, v13, vcc
	v_mov_b32_e32 v9, v4
	v_lshl_add_u64 v[8:9], v[8:9], 0, v[10:11]
	v_add_co_u32_e32 v1, vcc, v1, v8
	v_mul_hi_u32 v10, v6, v1
	s_nop 0
	v_addc_co_u32_e32 v5, vcc, v5, v9, vcc
	v_mad_u64_u32 v[8:9], s[2:3], v6, v5, 0
	v_mov_b32_e32 v11, v4
	v_lshl_add_u64 v[8:9], v[10:11], 0, v[8:9]
	v_mad_u64_u32 v[12:13], s[2:3], v7, v1, 0
	v_add_co_u32_e32 v1, vcc, v8, v12
	v_mad_u64_u32 v[10:11], s[2:3], v7, v5, 0
	s_nop 0
	v_addc_co_u32_e32 v8, vcc, v9, v13, vcc
	v_mov_b32_e32 v9, v4
	s_nop 0
	v_addc_co_u32_e32 v11, vcc, 0, v11, vcc
	v_lshl_add_u64 v[8:9], v[8:9], 0, v[10:11]
	v_mul_lo_u32 v1, s19, v8
	v_mul_lo_u32 v5, s18, v9
	v_mad_u64_u32 v[10:11], s[2:3], s18, v8, 0
	v_add3_u32 v1, v11, v5, v1
	v_sub_u32_e32 v5, v7, v1
	v_mov_b32_e32 v11, s19
	v_sub_co_u32_e32 v14, vcc, v6, v10
	v_lshl_add_u64 v[12:13], v[8:9], 0, 1
	s_nop 0
	v_subb_co_u32_e64 v5, s[2:3], v5, v11, vcc
	v_subrev_co_u32_e64 v10, s[2:3], s18, v14
	v_subb_co_u32_e32 v1, vcc, v7, v1, vcc
	s_nop 0
	v_subbrev_co_u32_e64 v5, s[2:3], 0, v5, s[2:3]
	v_cmp_le_u32_e64 s[2:3], s19, v5
	v_cmp_le_u32_e32 vcc, s19, v1
	s_nop 0
	v_cndmask_b32_e64 v11, 0, -1, s[2:3]
	v_cmp_le_u32_e64 s[2:3], s18, v10
	s_nop 1
	v_cndmask_b32_e64 v10, 0, -1, s[2:3]
	v_cmp_eq_u32_e64 s[2:3], s19, v5
	s_nop 1
	v_cndmask_b32_e64 v5, v11, v10, s[2:3]
	v_lshl_add_u64 v[10:11], v[8:9], 0, 2
	v_cmp_ne_u32_e64 s[2:3], 0, v5
	s_nop 1
	v_cndmask_b32_e64 v5, v13, v11, s[2:3]
	v_cndmask_b32_e64 v11, 0, -1, vcc
	v_cmp_le_u32_e32 vcc, s18, v14
	s_nop 1
	v_cndmask_b32_e64 v13, 0, -1, vcc
	v_cmp_eq_u32_e32 vcc, s19, v1
	s_nop 1
	v_cndmask_b32_e32 v1, v11, v13, vcc
	v_cmp_ne_u32_e32 vcc, 0, v1
	v_cndmask_b32_e64 v1, v12, v10, s[2:3]
	s_nop 0
	v_cndmask_b32_e32 v9, v9, v5, vcc
	v_cndmask_b32_e32 v8, v8, v1, vcc
.LBB0_4:                                ;   in Loop: Header=BB0_2 Depth=1
	s_andn2_saveexec_b64 s[2:3], s[20:21]
	s_cbranch_execz .LBB0_6
; %bb.5:                                ;   in Loop: Header=BB0_2 Depth=1
	v_cvt_f32_u32_e32 v1, s18
	s_sub_i32 s20, 0, s18
	v_rcp_iflag_f32_e32 v1, v1
	s_nop 0
	v_mul_f32_e32 v1, 0x4f7ffffe, v1
	v_cvt_u32_f32_e32 v1, v1
	v_mul_lo_u32 v5, s20, v1
	v_mul_hi_u32 v5, v1, v5
	v_add_u32_e32 v1, v1, v5
	v_mul_hi_u32 v1, v6, v1
	v_mul_lo_u32 v5, v1, s18
	v_sub_u32_e32 v5, v6, v5
	v_add_u32_e32 v8, 1, v1
	v_subrev_u32_e32 v9, s18, v5
	v_cmp_le_u32_e32 vcc, s18, v5
	s_nop 1
	v_cndmask_b32_e32 v5, v5, v9, vcc
	v_cndmask_b32_e32 v1, v1, v8, vcc
	v_add_u32_e32 v8, 1, v1
	v_cmp_le_u32_e32 vcc, s18, v5
	v_mov_b32_e32 v9, v4
	s_nop 0
	v_cndmask_b32_e32 v8, v1, v8, vcc
.LBB0_6:                                ;   in Loop: Header=BB0_2 Depth=1
	s_or_b64 exec, exec, s[2:3]
	v_mad_u64_u32 v[10:11], s[2:3], v8, s18, 0
	s_load_dwordx2 s[2:3], s[12:13], 0x0
	v_mul_lo_u32 v1, v9, s18
	v_mul_lo_u32 v5, v8, s19
	v_add3_u32 v1, v11, v5, v1
	v_sub_co_u32_e32 v5, vcc, v6, v10
	s_add_u32 s14, s14, 1
	s_nop 0
	v_subb_co_u32_e32 v1, vcc, v7, v1, vcc
	s_addc_u32 s15, s15, 0
	s_waitcnt lgkmcnt(0)
	v_mul_lo_u32 v1, s2, v1
	v_mul_lo_u32 v6, s3, v5
	v_mad_u64_u32 v[2:3], s[2:3], s2, v5, v[2:3]
	s_add_u32 s12, s12, 8
	v_add3_u32 v3, v6, v3, v1
	s_addc_u32 s13, s13, 0
	v_mov_b64_e32 v[6:7], s[6:7]
	s_add_u32 s16, s16, 8
	v_cmp_ge_u64_e32 vcc, s[14:15], v[6:7]
	s_addc_u32 s17, s17, 0
	s_cbranch_vccnz .LBB0_9
; %bb.7:                                ;   in Loop: Header=BB0_2 Depth=1
	v_mov_b64_e32 v[6:7], v[8:9]
	s_branch .LBB0_2
.LBB0_8:
	v_mov_b64_e32 v[8:9], v[6:7]
.LBB0_9:
	s_lshl_b64 s[2:3], s[6:7], 3
	s_add_u32 s2, s10, s2
	s_addc_u32 s3, s11, s3
	s_load_dwordx2 s[6:7], s[2:3], 0x0
	s_load_dwordx2 s[10:11], s[0:1], 0x20
	s_mov_b32 s2, 0x5050506
                                        ; implicit-def: $vgpr90
                                        ; implicit-def: $vgpr86
                                        ; implicit-def: $vgpr84
	s_waitcnt lgkmcnt(0)
	v_mul_lo_u32 v1, s6, v9
	v_mul_lo_u32 v4, s7, v8
	v_mad_u64_u32 v[2:3], s[0:1], s6, v8, v[2:3]
	v_add3_u32 v3, v4, v3, v1
	v_mul_hi_u32 v1, v0, s2
	v_mul_u32_u24_e32 v1, 51, v1
	v_sub_u32_e32 v80, v0, v1
	v_cmp_gt_u64_e64 s[0:1], s[10:11], v[8:9]
	v_cmp_le_u64_e32 vcc, s[10:11], v[8:9]
	v_add_u32_e32 v88, 51, v80
	s_and_saveexec_b64 s[2:3], vcc
	s_xor_b64 s[2:3], exec, s[2:3]
; %bb.10:
	v_add_u32_e32 v88, 51, v80
	v_add_u32_e32 v90, 0x66, v80
	v_add_u32_e32 v86, 0x99, v80
	v_add_u32_e32 v84, 0xcc, v80
; %bb.11:
	s_or_saveexec_b64 s[2:3], s[2:3]
	v_lshl_add_u64 v[82:83], v[2:3], 3, s[8:9]
	v_lshl_add_u32 v79, v80, 3, 0
	s_xor_b64 exec, exec, s[2:3]
	s_cbranch_execz .LBB0_13
; %bb.12:
	v_mov_b32_e32 v81, 0
	v_lshl_add_u64 v[0:1], v[80:81], 3, v[82:83]
	v_add_co_u32_e32 v18, vcc, 0x1000, v0
	global_load_dwordx2 v[2:3], v[0:1], off
	global_load_dwordx2 v[4:5], v[0:1], off offset:408
	global_load_dwordx2 v[6:7], v[0:1], off offset:816
	;; [unrolled: 1-line block ×7, first 2 shown]
	v_addc_co_u32_e32 v19, vcc, 0, v1, vcc
	global_load_dwordx2 v[20:21], v[0:1], off offset:3264
	global_load_dwordx2 v[22:23], v[0:1], off offset:3672
	;; [unrolled: 1-line block ×6, first 2 shown]
	v_add_u32_e32 v90, 0x66, v80
	v_add_u32_e32 v86, 0x99, v80
	;; [unrolled: 1-line block ×6, first 2 shown]
	s_waitcnt vmcnt(12)
	ds_write2_b64 v79, v[2:3], v[4:5] offset1:51
	s_waitcnt vmcnt(10)
	ds_write2_b64 v79, v[6:7], v[8:9] offset0:102 offset1:153
	s_waitcnt vmcnt(8)
	ds_write2_b64 v79, v[10:11], v[12:13] offset0:204 offset1:255
	;; [unrolled: 2-line block ×6, first 2 shown]
.LBB0_13:
	s_or_b64 exec, exec, s[2:3]
	v_add_u32_e32 v0, 0xc00, v79
	s_waitcnt lgkmcnt(0)
	; wave barrier
	s_waitcnt lgkmcnt(0)
	ds_read2_b64 v[6:9], v0 offset0:92 offset1:143
	ds_read2_b64 v[12:15], v79 offset0:204 offset1:238
	ds_read2_b64 v[16:19], v79 offset1:51
	v_add_u32_e32 v26, 0x800, v79
	ds_read2_b64 v[20:23], v26 offset0:33 offset1:84
	s_mov_b32 s2, 0x3f5db3d7
	s_waitcnt lgkmcnt(2)
	v_pk_add_f32 v[0:1], v[14:15], v[6:7]
	v_pk_add_f32 v[10:11], v[14:15], v[6:7] neg_lo:[0,1] neg_hi:[0,1]
	s_waitcnt lgkmcnt(1)
	v_pk_fma_f32 v[4:5], v[0:1], 0.5, v[16:17] op_sel_hi:[1,0,1] neg_lo:[1,0,0] neg_hi:[1,0,0]
	v_pk_add_f32 v[0:1], v[16:17], v[14:15]
	v_pk_mul_f32 v[24:25], v[10:11], s[2:3] op_sel_hi:[1,0]
	v_pk_fma_f32 v[2:3], v[10:11], s[2:3], v[4:5] op_sel:[0,0,1] op_sel_hi:[1,0,0] neg_lo:[1,0,0] neg_hi:[1,0,0]
	v_pk_add_f32 v[28:29], v[0:1], v[6:7]
	v_pk_fma_f32 v[6:7], v[10:11], s[2:3], v[4:5] op_sel:[0,0,1] op_sel_hi:[1,0,0]
	s_waitcnt lgkmcnt(0)
	v_pk_add_f32 v[10:11], v[18:19], v[20:21]
	v_add_u32_e32 v0, 0x1000, v79
	v_mov_b32_e32 v25, v10
	v_mov_b32_e32 v4, v5
	;; [unrolled: 1-line block ×3, first 2 shown]
	ds_read2_b64 v[14:17], v0 offset0:66 offset1:117
	ds_read2_b64 v[42:45], v79 offset0:102 offset1:153
	v_pk_add_f32 v[40:41], v[24:25], v[4:5]
	v_pk_add_f32 v[4:5], v[10:11], v[8:9]
	;; [unrolled: 1-line block ×3, first 2 shown]
	v_pk_add_f32 v[46:47], v[20:21], v[8:9] neg_lo:[0,1] neg_hi:[0,1]
	v_pk_fma_f32 v[24:25], v[10:11], 0.5, v[18:19] op_sel_hi:[1,0,1] neg_lo:[1,0,0] neg_hi:[1,0,0]
	ds_read2_b64 v[18:21], v26 offset0:135 offset1:186
	ds_read_b64 v[52:53], v79 offset:5440
	s_waitcnt lgkmcnt(3)
	v_pk_add_f32 v[8:9], v[22:23], v[14:15]
	v_mov_b32_e32 v55, v17
	s_waitcnt lgkmcnt(2)
	v_pk_fma_f32 v[48:49], v[8:9], 0.5, v[42:43] op_sel_hi:[1,0,1] neg_lo:[1,0,0] neg_hi:[1,0,0]
	v_pk_add_f32 v[8:9], v[22:23], v[14:15] neg_lo:[0,1] neg_hi:[0,1]
	v_mov_b32_e32 v54, v49
	v_pk_mul_f32 v[50:51], v[8:9], s[2:3] op_sel_hi:[1,0]
	v_pk_add_f32 v[8:9], v[42:43], v[22:23]
	v_pk_add_f32 v[26:27], v[48:49], v[50:51] op_sel:[0,1] op_sel_hi:[1,0] neg_lo:[0,1] neg_hi:[0,1]
	v_pk_add_f32 v[8:9], v[8:9], v[14:15]
	s_waitcnt lgkmcnt(0)
	v_pk_add_f32 v[14:15], v[20:21], v[52:53]
	v_pk_add_f32 v[10:11], v[48:49], v[50:51] op_sel:[0,1] op_sel_hi:[1,0]
	v_pk_fma_f32 v[22:23], v[14:15], 0.5, v[12:13] op_sel_hi:[1,0,1] neg_lo:[1,0,0] neg_hi:[1,0,0]
	v_pk_add_f32 v[14:15], v[12:13], v[20:21]
	v_pk_add_f32 v[12:13], v[18:19], v[16:17]
	v_pk_add_f32 v[56:57], v[18:19], v[16:17] neg_lo:[0,1] neg_hi:[0,1]
	v_mul_f32_e32 v0, 0.5, v13
	v_fma_f32 v49, -0.5, v12, v44
	v_pk_add_f32 v[12:13], v[44:45], v[18:19]
	v_mov_b32_e32 v19, v0
	v_pk_add_f32 v[58:59], v[44:45], v[18:19] neg_lo:[0,1] neg_hi:[0,1]
	v_pk_mul_f32 v[18:19], v[56:57], s[2:3] op_sel_hi:[1,0]
	v_mov_b32_e32 v44, v51
	v_mov_b32_e32 v17, v18
	;; [unrolled: 1-line block ×4, first 2 shown]
	v_pk_add_f32 v[20:21], v[20:21], v[52:53] neg_lo:[0,1] neg_hi:[0,1]
	v_mov_b32_e32 v45, v19
	v_pk_add_f32 v[18:19], v[12:13], v[16:17]
	v_pk_mul_f32 v[12:13], v[46:47], s[2:3] op_sel_hi:[1,0]
	v_pk_fma_f32 v[42:43], v[46:47], s[2:3], v[24:25] op_sel:[0,0,1] op_sel_hi:[1,0,0] neg_lo:[1,0,0] neg_hi:[1,0,0]
	v_pk_add_f32 v[12:13], v[24:25], v[12:13] op_sel:[0,1] op_sel_hi:[1,0]
	v_pk_mul_f32 v[24:25], v[20:21], s[2:3] op_sel_hi:[1,0]
	v_pk_add_f32 v[20:21], v[14:15], v[52:53]
	v_lshl_add_u32 v0, v80, 4, v79
	v_mov_b32_e32 v14, v7
	v_mov_b32_e32 v15, v2
	v_pk_add_f32 v[16:17], v[48:49], v[44:45] neg_lo:[0,1] neg_hi:[0,1]
	s_waitcnt lgkmcnt(0)
	; wave barrier
	ds_write2_b64 v0, v[28:29], v[14:15] offset1:1
	v_mov_b32_e32 v14, v3
	v_mov_b32_e32 v15, v40
	v_mov_b32_e32 v48, v59
	ds_write_b64 v0, v[14:15] offset:16
	v_pk_add_f32 v[14:15], v[24:25], v[22:23] op_sel:[1,0] op_sel_hi:[0,1]
	v_pk_add_f32 v[24:25], v[22:23], v[24:25] op_sel:[0,1] op_sel_hi:[1,0] neg_lo:[0,1] neg_hi:[0,1]
	v_mad_i32_i24 v0, v88, 24, 0
	v_pk_fma_f32 v[46:47], v[56:57], s[2:3], v[48:49] op_sel_hi:[1,0,1]
	v_pk_fma_f32 v[22:23], v[56:57], s[2:3], v[48:49] op_sel_hi:[1,0,1] neg_lo:[1,0,0] neg_hi:[1,0,0]
	v_mov_b32_e32 v4, v41
	v_mov_b32_e32 v48, v12
	v_mov_b32_e32 v49, v42
	v_pk_add_f32 v[44:45], v[50:51], v[54:55]
	ds_write2_b64 v0, v[4:5], v[48:49] offset1:1
	v_mov_b32_e32 v48, v43
	v_mov_b32_e32 v49, v13
	v_mad_i32_i24 v1, v90, 24, 0
	ds_write_b64 v0, v[48:49] offset:16
	v_mov_b32_e32 v48, v16
	v_mov_b32_e32 v49, v44
	v_mad_i32_i24 v6, v86, 24, 0
	v_mov_b32_e32 v11, v27
	ds_write_b64 v1, v[48:49] offset:16
	v_mov_b32_e32 v48, v18
	v_mov_b32_e32 v49, v45
	;; [unrolled: 1-line block ×4, first 2 shown]
	ds_write2_b64 v1, v[8:9], v[10:11] offset1:1
	ds_write2_b64 v6, v[48:49], v[50:51] offset1:1
	v_mov_b32_e32 v48, v17
	v_mov_b32_e32 v49, v19
	v_cmp_gt_u32_e32 vcc, 34, v80
	ds_write_b64 v6, v[48:49] offset:16
	s_and_saveexec_b64 s[2:3], vcc
	s_cbranch_execz .LBB0_15
; %bb.14:
	v_mad_i32_i24 v0, v84, 24, 0
	v_mov_b32_e32 v48, v14
	v_mov_b32_e32 v49, v25
	ds_write2_b64 v0, v[20:21], v[48:49] offset1:1
	v_mov_b32_e32 v48, v24
	v_mov_b32_e32 v49, v15
	ds_write_b64 v0, v[48:49] offset:16
.LBB0_15:
	s_or_b64 exec, exec, s[2:3]
	v_cmp_gt_u32_e32 vcc, 42, v80
	v_cmp_lt_u32_e64 s[2:3], 41, v80
	s_waitcnt lgkmcnt(0)
	; wave barrier
	s_waitcnt lgkmcnt(0)
	s_and_saveexec_b64 s[6:7], s[2:3]
	s_xor_b64 s[2:3], exec, s[6:7]
; %bb.16:
	v_mov_b32_e32 v6, v2
	v_mov_b32_e32 v11, v27
	;; [unrolled: 1-line block ×3, first 2 shown]
; %bb.17:
	s_or_saveexec_b64 s[2:3], s[2:3]
                                        ; implicit-def: $vgpr48
	s_xor_b64 exec, exec, s[2:3]
	s_cbranch_execz .LBB0_19
; %bb.18:
	v_add_u32_e32 v0, 0x400, v79
	ds_read2_b64 v[28:31], v79 offset1:42
	ds_read2_b64 v[4:7], v79 offset0:84 offset1:126
	ds_read2_b64 v[12:15], v79 offset0:168 offset1:210
	;; [unrolled: 1-line block ×3, first 2 shown]
	v_add_u32_e32 v0, 0x800, v79
	ds_read2_b64 v[16:19], v0 offset0:80 offset1:122
	ds_read2_b64 v[50:53], v0 offset0:164 offset1:206
	v_add_u32_e32 v0, 0xc00, v79
	ds_read2_b64 v[20:23], v0 offset0:120 offset1:162
	v_add_u32_e32 v0, 0x1000, v79
	ds_read2_b64 v[24:27], v0 offset0:76 offset1:118
	ds_read_b64 v[48:49], v79 offset:5376
	s_waitcnt lgkmcnt(7)
	v_mov_b32_e32 v40, v5
	v_mov_b32_e32 v41, v6
	;; [unrolled: 1-line block ×3, first 2 shown]
	s_waitcnt lgkmcnt(6)
	v_mov_b32_e32 v42, v13
	v_mov_b32_e32 v43, v14
	;; [unrolled: 1-line block ×3, first 2 shown]
	s_waitcnt lgkmcnt(4)
	v_mov_b32_e32 v44, v17
	v_mov_b32_e32 v45, v19
	s_waitcnt lgkmcnt(3)
	v_mov_b32_e32 v19, v53
	s_waitcnt lgkmcnt(2)
	;; [unrolled: 2-line block ×3, first 2 shown]
	v_mov_b32_e32 v15, v25
	v_mov_b32_e32 v17, v52
	;; [unrolled: 1-line block ×7, first 2 shown]
.LBB0_19:
	s_or_b64 exec, exec, s[2:3]
	s_waitcnt lgkmcnt(0)
	; wave barrier
	s_waitcnt lgkmcnt(0)
	s_and_saveexec_b64 s[2:3], vcc
	s_cbranch_execz .LBB0_21
; %bb.20:
	s_movk_i32 s6, 0xab
	v_mul_lo_u16_sdwa v0, v80, s6 dst_sel:DWORD dst_unused:UNUSED_PAD src0_sel:BYTE_0 src1_sel:DWORD
	v_lshrrev_b16_e32 v0, 9, v0
	v_mul_lo_u16_e32 v1, 3, v0
	v_sub_u16_e32 v33, v80, v1
	v_mov_b32_e32 v1, 7
	v_lshlrev_b32_sdwa v1, v1, v33 dst_sel:DWORD dst_unused:UNUSED_PAD src0_sel:DWORD src1_sel:BYTE_0
	global_load_dwordx4 v[50:53], v1, s[4:5] offset:112
	global_load_dwordx4 v[54:57], v1, s[4:5] offset:96
	global_load_dwordx4 v[58:61], v1, s[4:5]
	global_load_dwordx4 v[62:65], v1, s[4:5] offset:16
	global_load_dwordx4 v[66:69], v1, s[4:5] offset:32
	;; [unrolled: 1-line block ×4, first 2 shown]
	v_accvgpr_write_b32 a0, v80
	v_accvgpr_write_b32 a1, v79
	global_load_dwordx4 v[78:81], v1, s[4:5] offset:48
	v_mov_b32_e32 v2, v49
	v_mov_b32_e32 v46, v27
	v_accvgpr_write_b32 a4, v84
	v_mov_b32_e32 v84, v47
	v_accvgpr_write_b32 a2, v82
	v_accvgpr_write_b32 a6, v86
	v_mov_b32_e32 v86, v9
	v_accvgpr_write_b32 a10, v90
	v_mov_b32_e32 v90, v29
	;; [unrolled: 2-line block ×3, first 2 shown]
                                        ; kill: killed $vgpr1
	v_accvgpr_write_b32 a8, v88
	v_mov_b32_e32 v88, v11
	v_mov_b64_e32 v[38:39], v[28:29]
	s_mov_b32 s36, 0x3f6eb680
	s_mov_b32 s37, 0xbeb8f4ab
	;; [unrolled: 1-line block ×32, first 2 shown]
	v_mul_u32_u24_e32 v0, 0x198, v0
	s_mov_b32 s63, 0x3f06c442
	s_mov_b32 s62, s46
	;; [unrolled: 1-line block ×23, first 2 shown]
	s_waitcnt vmcnt(7)
	v_pk_mul_f32 v[2:3], v[2:3], v[52:53] op_sel_hi:[0,1]
	v_pk_mul_f32 v[46:47], v[46:47], v[50:51] op_sel_hi:[0,1]
	s_waitcnt vmcnt(5)
	v_pk_mul_f32 v[96:97], v[6:7], v[58:59]
	v_pk_mul_f32 v[94:95], v[24:25], v[54:55] op_sel:[1,0]
	v_mov_b32_e32 v96, v59
	s_waitcnt vmcnt(2)
	v_pk_mul_f32 v[102:103], v[20:21], v[72:73] op_sel:[1,0]
	v_pk_mul_f32 v[104:105], v[18:19], v[70:71] op_sel:[1,0]
	s_waitcnt vmcnt(1)
	v_pk_mul_f32 v[22:23], v[22:23], v[76:77] op_sel_hi:[0,1]
	v_pk_mul_f32 v[106:107], v[44:45], v[74:75] op_sel:[1,0]
	s_waitcnt vmcnt(0)
	v_pk_mul_f32 v[44:45], v[44:45], v[80:81] op_sel_hi:[0,1]
	v_mov_b32_e32 v108, v69
	v_mov_b32_e32 v109, v68
	v_pk_mul_f32 v[92:93], v[14:15], v[56:57] op_sel:[1,0]
	v_mov_b32_e32 v98, v61
	v_mov_b32_e32 v61, v63
	v_mov_b32_e32 v100, v65
	v_mov_b32_e32 v101, v66
	v_mov_b32_e32 v65, v67
	v_pk_mul_f32 v[110:111], v[10:11], v[78:79] op_sel:[0,1] op_sel_hi:[1,0]
	v_pk_fma_f32 v[112:113], v[48:49], v[52:53], v[2:3] op_sel:[0,0,1] op_sel_hi:[0,1,0] neg_lo:[0,0,1] neg_hi:[0,0,1]
	v_pk_fma_f32 v[48:49], v[48:49], v[52:53], v[2:3] op_sel:[0,0,1] op_sel_hi:[0,1,0]
	v_pk_fma_f32 v[52:53], v[26:27], v[50:51], v[46:47] op_sel:[0,0,1] op_sel_hi:[0,1,0] neg_lo:[0,0,1] neg_hi:[0,0,1]
	v_pk_fma_f32 v[26:27], v[26:27], v[50:51], v[46:47] op_sel:[0,0,1] op_sel_hi:[0,1,0]
	;; [unrolled: 2-line block ×3, first 2 shown]
	v_mov_b32_e32 v2, v97
	v_pk_mul_f32 v[54:55], v[6:7], v[96:97]
	v_pk_fma_f32 v[94:95], v[20:21], v[72:73], v[102:103] op_sel:[0,0,1] op_sel_hi:[0,1,0] neg_lo:[0,0,1] neg_hi:[0,0,1]
	v_pk_fma_f32 v[20:21], v[20:21], v[72:73], v[102:103] op_sel:[0,0,1] op_sel_hi:[0,1,0]
	v_pk_fma_f32 v[72:73], v[16:17], v[70:71], v[104:105] op_sel:[1,0,1] op_sel_hi:[1,1,0] neg_lo:[0,0,1] neg_hi:[0,0,1]
	v_pk_fma_f32 v[70:71], v[16:17], v[70:71], v[104:105] op_sel:[1,0,1] op_sel_hi:[1,1,0]
	;; [unrolled: 2-line block ×5, first 2 shown]
	v_pk_mul_f32 v[84:85], v[8:9], v[108:109]
	v_mov_b32_e32 v99, v62
	v_pk_fma_f32 v[46:47], v[24:25], v[56:57], v[92:93] op_sel:[0,0,1] op_sel_hi:[0,1,0] neg_lo:[0,0,1] neg_hi:[0,0,1]
	v_pk_fma_f32 v[24:25], v[24:25], v[56:57], v[92:93] op_sel:[0,0,1] op_sel_hi:[0,1,0]
	v_pk_mul_f32 v[56:57], v[40:41], v[60:61]
	v_pk_mul_f32 v[92:93], v[42:43], v[64:65]
	;; [unrolled: 1-line block ×3, first 2 shown]
	v_mov_b32_e32 v16, v111
	v_pk_fma_f32 v[102:103], v[6:7], v[58:59], v[2:3]
	v_mov_b32_e32 v2, v85
	v_pk_mul_f32 v[40:41], v[40:41], v[98:99]
	v_pk_mul_f32 v[44:45], v[86:87], v[108:109]
	v_pk_fma_f32 v[6:7], v[4:5], v[98:99], v[56:57]
	v_fma_f32 v36, v12, v64, -v42
	v_fma_f32 v37, -v13, v67, v43
	v_pk_fma_f32 v[42:43], v[10:11], v[78:79], v[16:17] op_sel:[0,1,0] op_sel_hi:[1,0,1]
	v_mov_b32_e32 v75, v17
	v_pk_fma_f32 v[16:17], v[8:9], v[108:109], v[2:3]
	v_pk_add_f32 v[2:3], v[90:91], v[102:103]
	v_fma_f32 v1, v4, v60, -v40
	v_fma_f32 v32, -v5, v63, v41
	v_pk_fma_f32 v[40:41], v[12:13], v[100:101], v[92:93]
	v_pk_fma_f32 v[12:13], v[8:9], v[68:69], v[44:45] neg_lo:[0,0,1] neg_hi:[0,0,1]
	v_pk_add_f32 v[8:9], v[2:3], v[6:7]
	v_mov_b32_e32 v2, v27
	v_pk_mul_f32 v[88:89], v[88:89], v[78:79] op_sel:[0,1] op_sel_hi:[0,0]
	v_pk_add_f32 v[84:85], v[6:7], v[2:3] neg_lo:[0,1] neg_hi:[0,1]
	v_mov_b32_e32 v2, v15
	v_pk_fma_f32 v[80:81], v[10:11], v[78:79], v[88:89] neg_lo:[0,0,1] neg_hi:[0,0,1]
	v_pk_add_f32 v[88:89], v[40:41], v[2:3] neg_lo:[0,1] neg_hi:[0,1]
	v_mov_b32_e32 v2, v71
	v_pk_fma_f32 v[54:55], v[82:83], v[58:59], v[54:55] op_sel_hi:[0,1,1] neg_lo:[0,0,1] neg_hi:[0,0,1]
	v_mov_b32_e32 v4, v7
	v_mov_b32_e32 v5, v6
	v_pk_add_f32 v[62:63], v[16:17], v[2:3] neg_lo:[0,1] neg_hi:[0,1]
	v_mov_b32_e32 v2, v49
	v_pk_add_f32 v[8:9], v[8:9], v[4:5]
	v_pk_add_f32 v[106:107], v[102:103], v[2:3] neg_lo:[0,1] neg_hi:[0,1]
	v_add_f32_e32 v2, v38, v54
	v_pk_add_f32 v[28:29], v[4:5], v[26:27]
	v_pk_add_f32 v[4:5], v[6:7], v[24:25]
	v_pk_add_f32 v[30:31], v[6:7], v[24:25] neg_lo:[0,1] neg_hi:[0,1]
	v_pk_add_f32 v[6:7], v[8:9], v[40:41]
	v_add_f32_e32 v2, v2, v1
	v_mov_b32_e32 v7, v6
	v_add_f32_e32 v2, v2, v32
	v_mov_b32_e32 v77, v19
	v_pk_add_f32 v[18:19], v[6:7], v[40:41]
	v_mov_b32_e32 v7, v40
	v_add_f32_e32 v2, v2, v36
	v_mov_b32_e32 v51, v15
	v_pk_add_f32 v[6:7], v[6:7], v[14:15]
	v_pk_add_f32 v[58:59], v[12:13], v[72:73] neg_lo:[0,1] neg_hi:[0,1]
	v_pk_add_f32 v[82:83], v[12:13], v[72:73]
	v_mov_b32_e32 v13, v16
	v_mov_b32_e32 v15, v102
	v_add_f32_e32 v18, v2, v37
	v_mov_b32_e32 v11, v16
	v_pk_add_f32 v[16:17], v[14:15], v[48:49]
	v_pk_add_f32 v[14:15], v[18:19], v[12:13]
	v_pk_add_f32 v[34:35], v[80:81], v[96:97] neg_lo:[0,1] neg_hi:[0,1]
	v_pk_add_f32 v[100:101], v[80:81], v[96:97]
	v_mov_b32_e32 v81, v42
	v_mov_b32_e32 v47, v25
	v_pk_add_f32 v[24:25], v[54:55], v[112:113] neg_lo:[0,1] neg_hi:[0,1]
	v_pk_add_f32 v[110:111], v[54:55], v[112:113]
	v_mov_b32_e32 v13, v42
	v_pk_add_f32 v[14:15], v[14:15], v[80:81]
	v_mov_b32_e32 v19, v23
	;; [unrolled: 2-line block ×4, first 2 shown]
	v_mov_b32_e32 v18, v96
	v_pk_add_f32 v[102:103], v[42:43], v[2:3] neg_lo:[0,1] neg_hi:[0,1]
	v_pk_add_f32 v[22:23], v[22:23], v[76:77]
	v_pk_mul_f32 v[2:3], v[110:111], s[36:37]
	v_mov_b32_e32 v53, v27
	v_mov_b32_e32 v95, v21
	v_pk_add_f32 v[8:9], v[40:41], v[20:21]
	v_pk_add_f32 v[56:57], v[40:41], v[20:21] neg_lo:[0,1] neg_hi:[0,1]
	v_mov_b32_e32 v20, v72
	v_mov_b32_e32 v21, v71
	v_pk_add_f32 v[18:19], v[22:23], v[18:19]
	v_sub_f32_e32 v27, v1, v52
	v_add_f32_e32 v26, v1, v52
	v_mov_b32_e32 v16, v106
	v_accvgpr_write_b32 a15, v3
	v_pk_add_f32 v[18:19], v[18:19], v[20:21]
	v_pk_fma_f32 v[22:23], v[106:107], s[6:7], v[2:3] neg_lo:[1,0,0] neg_hi:[1,0,0]
	v_pk_fma_f32 v[20:21], v[16:17], s[6:7], v[2:3]
	v_accvgpr_write_b32 a14, v2
	v_pk_mul_f32 v[2:3], v[26:27], s[42:43]
	v_sub_f32_e32 v55, v32, v46
	v_add_f32_e32 v54, v32, v46
	v_mov_b32_e32 v28, v84
	v_accvgpr_write_b32 a19, v3
	v_pk_add_f32 v[18:19], v[18:19], v[94:95]
	v_mov_b32_e32 v23, v21
	v_accvgpr_write_b32 a12, v20
	v_pk_fma_f32 v[42:43], v[84:85], s[8:9], v[2:3] neg_lo:[1,0,0] neg_hi:[1,0,0]
	v_pk_fma_f32 v[20:21], v[28:29], s[8:9], v[2:3]
	v_accvgpr_write_b32 a18, v2
	v_pk_mul_f32 v[2:3], v[54:55], s[54:55]
	v_mov_b32_e32 v48, v112
	v_sub_f32_e32 v113, v36, v50
	v_add_f32_e32 v112, v36, v50
	v_pk_add_f32 v[18:19], v[18:19], v[50:51]
	v_mov_b32_e32 v4, v31
	v_accvgpr_write_b32 a23, v3
	v_pk_add_f32 v[18:19], v[18:19], v[46:47]
	v_mov_b32_e32 v43, v21
	v_accvgpr_write_b32 a16, v20
	v_pk_fma_f32 v[44:45], v[4:5], s[10:11], v[2:3] neg_lo:[1,0,0] neg_hi:[1,0,0]
	v_pk_fma_f32 v[20:21], v[4:5], s[10:11], v[2:3]
	v_accvgpr_write_b32 a22, v2
	v_pk_mul_f32 v[2:3], v[112:113], s[44:45]
	v_sub_f32_e32 v109, v37, v94
	v_add_f32_e32 v108, v37, v94
	v_pk_add_f32 v[18:19], v[18:19], v[52:53]
	v_pk_add_f32 v[40:41], v[38:39], v[22:23]
	v_mov_b32_e32 v6, v88
	v_accvgpr_write_b32 a25, v3
	v_pk_add_f32 v[18:19], v[18:19], v[48:49]
	v_pk_add_f32 v[42:43], v[42:43], v[40:41]
	v_mov_b32_e32 v45, v21
	v_pk_fma_f32 v[48:49], v[88:89], s[12:13], v[2:3] neg_lo:[1,0,0] neg_hi:[1,0,0]
	v_pk_fma_f32 v[68:69], v[6:7], s[12:13], v[2:3]
	v_accvgpr_write_b32 a24, v2
	v_pk_mul_f32 v[2:3], v[108:109], s[38:39]
	v_pk_add_f32 v[46:47], v[44:45], v[42:43]
	v_mov_b32_e32 v49, v69
	v_mov_b32_e32 v8, v57
	v_accvgpr_write_b32 a27, v3
	v_mov_b32_e32 v83, v58
	v_pk_add_f32 v[10:11], v[10:11], v[70:71]
	v_pk_add_f32 v[50:51], v[48:49], v[46:47]
	v_pk_fma_f32 v[52:53], v[8:9], s[14:15], v[2:3] neg_lo:[1,0,0] neg_hi:[1,0,0]
	v_pk_fma_f32 v[48:49], v[8:9], s[14:15], v[2:3]
	v_accvgpr_write_b32 a26, v2
	v_pk_mul_f32 v[2:3], v[82:83], s[40:41]
	v_mov_b32_e32 v53, v49
	v_mov_b32_e32 v10, v62
	v_accvgpr_write_b32 a29, v3
	v_mov_b32_e32 v101, v34
	v_pk_add_f32 v[14:15], v[74:75], v[76:77]
	v_pk_add_f32 v[60:61], v[74:75], v[76:77] neg_lo:[0,1] neg_hi:[0,1]
	v_pk_add_f32 v[56:57], v[52:53], v[50:51]
	v_pk_fma_f32 v[58:59], v[62:63], s[16:17], v[2:3] neg_lo:[1,0,0] neg_hi:[1,0,0]
	v_pk_fma_f32 v[50:51], v[10:11], s[16:17], v[2:3]
	v_accvgpr_write_b32 a28, v2
	v_mov_b32_e32 v12, v102
	v_pk_mul_f32 v[2:3], v[100:101], s[46:47]
	v_mov_b32_e32 v59, v51
	v_pk_fma_f32 v[64:65], v[102:103], s[18:19], v[2:3] neg_lo:[1,0,0] neg_hi:[1,0,0]
	v_pk_fma_f32 v[46:47], v[12:13], s[18:19], v[2:3]
	v_accvgpr_write_b32 a31, v3
	v_mov_b32_e32 v150, v14
	v_mov_b32_e32 v151, v60
	v_pk_add_f32 v[58:59], v[58:59], v[56:57]
	v_accvgpr_write_b32 a30, v2
	v_mov_b32_e32 v65, v47
	v_mov_b32_e32 v14, v61
	v_pk_mul_f32 v[2:3], v[150:151], s[50:51]
	v_mov_b32_e32 v1, 3
	v_pk_add_f32 v[64:65], v[64:65], v[58:59]
	v_pk_fma_f32 v[66:67], v[14:15], s[20:21], v[2:3] neg_lo:[1,0,0] neg_hi:[1,0,0]
	v_pk_fma_f32 v[58:59], v[14:15], s[20:21], v[2:3]
	v_lshlrev_b32_sdwa v1, v1, v33 dst_sel:DWORD dst_unused:UNUSED_PAD src0_sel:DWORD src1_sel:BYTE_0
	v_mov_b32_e32 v67, v59
	v_add3_u32 v44, 0, v0, v1
	v_pk_mul_f32 v[0:1], v[110:111], s[42:43]
	v_pk_add_f32 v[64:65], v[66:67], v[64:65]
	v_pk_fma_f32 v[66:67], v[106:107], s[8:9], v[0:1] neg_lo:[1,0,0] neg_hi:[1,0,0]
	v_pk_fma_f32 v[24:25], v[16:17], s[8:9], v[0:1]
	ds_write2_b64 v44, v[18:19], v[64:65] offset1:3
	v_mov_b32_e32 v67, v25
	v_pk_mul_f32 v[64:65], v[26:27], s[44:45]
	v_pk_add_f32 v[70:71], v[38:39], v[66:67]
	v_pk_fma_f32 v[72:73], v[84:85], s[12:13], v[64:65] neg_lo:[1,0,0] neg_hi:[1,0,0]
	v_pk_fma_f32 v[66:67], v[28:29], s[12:13], v[64:65]
	v_pk_mul_f32 v[60:61], v[26:27], s[40:41]
	v_mov_b32_e32 v73, v67
	v_pk_add_f32 v[74:75], v[72:73], v[70:71]
	v_pk_mul_f32 v[72:73], v[54:55], s[40:41]
	v_pk_fma_f32 v[128:129], v[84:85], s[16:17], v[60:61] neg_lo:[1,0,0] neg_hi:[1,0,0]
	v_pk_fma_f32 v[76:77], v[4:5], s[16:17], v[72:73] neg_lo:[1,0,0] neg_hi:[1,0,0]
	v_pk_fma_f32 v[70:71], v[4:5], s[16:17], v[72:73]
	v_accvgpr_write_b32 a20, v20
	v_mov_b32_e32 v77, v71
	v_pk_add_f32 v[78:79], v[76:77], v[74:75]
	v_pk_mul_f32 v[76:77], v[112:113], s[50:51]
	v_pk_mul_f32 v[56:57], v[26:27], s[50:51]
	v_pk_fma_f32 v[80:81], v[88:89], s[20:21], v[76:77] neg_lo:[1,0,0] neg_hi:[1,0,0]
	v_pk_fma_f32 v[74:75], v[6:7], s[20:21], v[76:77]
	v_pk_fma_f32 v[162:163], v[84:85], s[20:21], v[56:57] neg_lo:[1,0,0] neg_hi:[1,0,0]
	v_mov_b32_e32 v81, v75
	v_pk_add_f32 v[90:91], v[80:81], v[78:79]
	v_pk_mul_f32 v[80:81], v[108:109], s[62:63]
	s_mov_b32 s64, s40
	v_pk_fma_f32 v[92:93], v[8:9], s[22:23], v[80:81] neg_lo:[1,0,0] neg_hi:[1,0,0]
	v_pk_fma_f32 v[78:79], v[8:9], s[22:23], v[80:81]
	s_mov_b32 s48, s65
	v_mov_b32_e32 v93, v79
	v_pk_add_f32 v[94:95], v[92:93], v[90:91]
	v_pk_mul_f32 v[92:93], v[82:83], s[60:61]
	s_mov_b32 s49, s40
	v_pk_fma_f32 v[96:97], v[62:63], s[24:25], v[92:93] neg_lo:[1,0,0] neg_hi:[1,0,0]
	v_pk_fma_f32 v[90:91], v[10:11], s[24:25], v[92:93]
	v_pk_mul_f32 v[52:53], v[26:27], s[62:63]
	v_mov_b32_e32 v97, v91
	v_pk_add_f32 v[98:99], v[96:97], v[94:95]
	v_pk_mul_f32 v[96:97], v[100:101], s[52:53]
	v_pk_fma_f32 v[194:195], v[84:85], s[22:23], v[52:53] neg_lo:[1,0,0] neg_hi:[1,0,0]
	v_pk_fma_f32 v[104:105], v[102:103], s[26:27], v[96:97] neg_lo:[1,0,0] neg_hi:[1,0,0]
	v_pk_fma_f32 v[94:95], v[12:13], s[26:27], v[96:97]
	s_mov_b32 s63, 0x3f7ee86f
	v_mov_b32_e32 v105, v95
	v_pk_add_f32 v[118:119], v[104:105], v[98:99]
	v_pk_mul_f32 v[104:105], v[150:151], s[56:57]
	s_mov_b32 s62, s44
	v_pk_fma_f32 v[120:121], v[14:15], s[28:29], v[104:105] neg_lo:[1,0,0] neg_hi:[1,0,0]
	v_pk_fma_f32 v[98:99], v[14:15], s[28:29], v[104:105]
	v_pk_mul_f32 v[40:41], v[110:111], s[40:41]
	v_mov_b32_e32 v121, v99
	v_pk_add_f32 v[18:19], v[120:121], v[118:119]
	v_pk_mul_f32 v[120:121], v[110:111], s[54:55]
	v_pk_mul_f32 v[22:23], v[26:27], s[60:61]
	v_pk_fma_f32 v[122:123], v[106:107], s[10:11], v[120:121] neg_lo:[1,0,0] neg_hi:[1,0,0]
	v_pk_fma_f32 v[118:119], v[16:17], s[10:11], v[120:121]
	v_pk_fma_f32 v[226:227], v[84:85], s[24:25], v[22:23] neg_lo:[1,0,0] neg_hi:[1,0,0]
	v_mov_b32_e32 v123, v119
	v_pk_add_f32 v[126:127], v[38:39], v[122:123]
	v_pk_fma_f32 v[122:123], v[28:29], s[16:17], v[60:61]
	v_pk_fma_f32 v[228:229], v[28:29], s[24:25], v[22:23]
	v_mov_b32_e32 v129, v123
	v_pk_add_f32 v[130:131], v[128:129], v[126:127]
	v_pk_mul_f32 v[128:129], v[54:55], s[34:35]
	s_mov_b32 s34, s59
	v_pk_fma_f32 v[132:133], v[4:5], s[30:31], v[128:129] neg_lo:[1,0,0] neg_hi:[1,0,0]
	v_pk_fma_f32 v[126:127], v[4:5], s[30:31], v[128:129]
	s_mov_b32 s35, s42
	v_mov_b32_e32 v133, v127
	v_pk_add_f32 v[134:135], v[132:133], v[130:131]
	v_pk_mul_f32 v[132:133], v[112:113], s[60:61]
	v_mov_b32_e32 v227, v229
	v_pk_fma_f32 v[136:137], v[88:89], s[24:25], v[132:133] neg_lo:[1,0,0] neg_hi:[1,0,0]
	v_pk_fma_f32 v[130:131], v[6:7], s[24:25], v[132:133]
	v_pk_mul_f32 v[42:43], v[26:27], s[52:53]
	v_mov_b32_e32 v137, v131
	v_pk_add_f32 v[138:139], v[136:137], v[134:135]
	v_pk_mul_f32 v[136:137], v[108:109], s[58:59]
	v_pk_fma_f32 v[124:125], v[84:85], s[26:27], v[42:43] neg_lo:[1,0,0] neg_hi:[1,0,0]
	v_pk_fma_f32 v[140:141], v[8:9], s[34:35], v[136:137] neg_lo:[1,0,0] neg_hi:[1,0,0]
	v_pk_fma_f32 v[134:135], v[8:9], s[34:35], v[136:137]
	v_pk_fma_f32 v[158:159], v[28:29], s[26:27], v[42:43]
	v_mov_b32_e32 v141, v135
	v_pk_add_f32 v[142:143], v[140:141], v[138:139]
	v_pk_mul_f32 v[140:141], v[82:83], s[36:37]
	v_mov_b32_e32 v125, v159
	v_pk_fma_f32 v[144:145], v[62:63], s[6:7], v[140:141] neg_lo:[1,0,0] neg_hi:[1,0,0]
	v_pk_fma_f32 v[138:139], v[10:11], s[6:7], v[140:141]
	v_pk_mul_f32 v[26:27], v[26:27], s[56:57]
	v_mov_b32_e32 v145, v139
	v_pk_add_f32 v[146:147], v[144:145], v[142:143]
	v_pk_mul_f32 v[144:145], v[100:101], s[44:45]
	v_pk_fma_f32 v[84:85], v[84:85], s[28:29], v[26:27] neg_lo:[1,0,0] neg_hi:[1,0,0]
	v_pk_fma_f32 v[148:149], v[102:103], s[12:13], v[144:145] neg_lo:[1,0,0] neg_hi:[1,0,0]
	v_pk_fma_f32 v[142:143], v[12:13], s[12:13], v[144:145]
	v_accvgpr_write_b32 a33, v3
	v_mov_b32_e32 v149, v143
	v_pk_add_f32 v[154:155], v[148:149], v[146:147]
	v_pk_mul_f32 v[148:149], v[150:151], s[46:47]
	v_accvgpr_write_b32 a32, v2
	v_pk_fma_f32 v[156:157], v[14:15], s[18:19], v[148:149] neg_lo:[1,0,0] neg_hi:[1,0,0]
	v_pk_fma_f32 v[146:147], v[14:15], s[18:19], v[148:149]
	v_accvgpr_write_b32 a35, v1
	v_mov_b32_e32 v157, v147
	v_pk_add_f32 v[154:155], v[156:157], v[154:155]
	ds_write2_b64 v44, v[18:19], v[154:155] offset0:6 offset1:9
	v_pk_mul_f32 v[154:155], v[110:111], s[44:45]
	v_accvgpr_write_b32 a34, v0
	v_pk_fma_f32 v[156:157], v[106:107], s[12:13], v[154:155] neg_lo:[1,0,0] neg_hi:[1,0,0]
	v_pk_fma_f32 v[20:21], v[16:17], s[12:13], v[154:155]
	s_nop 0
	v_mov_b32_e32 v157, v21
	v_pk_add_f32 v[160:161], v[38:39], v[156:157]
	v_pk_fma_f32 v[156:157], v[28:29], s[20:21], v[56:57]
	s_nop 0
	v_mov_b32_e32 v163, v157
	v_pk_add_f32 v[164:165], v[162:163], v[160:161]
	v_pk_mul_f32 v[162:163], v[54:55], s[60:61]
	s_nop 0
	v_pk_fma_f32 v[166:167], v[4:5], s[24:25], v[162:163] neg_lo:[1,0,0] neg_hi:[1,0,0]
	v_pk_fma_f32 v[160:161], v[4:5], s[24:25], v[162:163]
	s_nop 0
	v_mov_b32_e32 v167, v161
	v_pk_add_f32 v[168:169], v[166:167], v[164:165]
	v_pk_mul_f32 v[166:167], v[112:113], s[56:57]
	s_nop 0
	v_pk_fma_f32 v[170:171], v[88:89], s[28:29], v[166:167] neg_lo:[1,0,0] neg_hi:[1,0,0]
	;; [unrolled: 7-line block ×7, first 2 shown]
	v_pk_fma_f32 v[184:185], v[16:17], s[14:15], v[186:187]
	s_nop 0
	v_mov_b32_e32 v189, v185
	v_pk_add_f32 v[192:193], v[38:39], v[188:189]
	v_pk_fma_f32 v[188:189], v[28:29], s[22:23], v[52:53]
	s_nop 0
	v_mov_b32_e32 v195, v189
	v_pk_add_f32 v[196:197], v[194:195], v[192:193]
	v_pk_mul_f32 v[194:195], v[54:55], s[58:59]
	s_nop 0
	v_pk_fma_f32 v[198:199], v[4:5], s[34:35], v[194:195] neg_lo:[1,0,0] neg_hi:[1,0,0]
	v_pk_fma_f32 v[192:193], v[4:5], s[34:35], v[194:195]
	s_nop 0
	v_mov_b32_e32 v199, v193
	v_pk_add_f32 v[200:201], v[198:199], v[196:197]
	v_pk_mul_f32 v[198:199], v[112:113], s[54:55]
	s_mov_b32 s54, s63
	v_pk_fma_f32 v[202:203], v[88:89], s[10:11], v[198:199] neg_lo:[1,0,0] neg_hi:[1,0,0]
	v_pk_fma_f32 v[196:197], v[6:7], s[10:11], v[198:199]
	s_mov_b32 s55, s44
	v_mov_b32_e32 v203, v197
	v_pk_add_f32 v[204:205], v[202:203], v[200:201]
	v_pk_mul_f32 v[202:203], v[108:109], s[50:51]
	s_nop 0
	v_pk_fma_f32 v[206:207], v[8:9], s[20:21], v[202:203] neg_lo:[1,0,0] neg_hi:[1,0,0]
	v_pk_fma_f32 v[200:201], v[8:9], s[20:21], v[202:203]
	s_nop 0
	v_mov_b32_e32 v207, v201
	v_pk_add_f32 v[208:209], v[206:207], v[204:205]
	v_pk_mul_f32 v[206:207], v[82:83], s[62:63]
	s_nop 0
	v_pk_fma_f32 v[210:211], v[62:63], s[54:55], v[206:207] neg_lo:[1,0,0] neg_hi:[1,0,0]
	v_pk_fma_f32 v[204:205], v[10:11], s[54:55], v[206:207]
	s_nop 0
	;; [unrolled: 7-line block ×4, first 2 shown]
	v_mov_b32_e32 v223, v213
	v_pk_add_f32 v[220:221], v[222:223], v[220:221]
	ds_write2_b64 v44, v[18:19], v[220:221] offset0:12 offset1:15
	v_pk_fma_f32 v[220:221], v[106:107], s[16:17], v[40:41] neg_lo:[1,0,0] neg_hi:[1,0,0]
	v_pk_fma_f32 v[222:223], v[16:17], s[16:17], v[40:41]
	v_mov_b64_e32 v[18:19], v[38:39]
	v_mov_b32_e32 v221, v223
	v_pk_add_f32 v[220:221], v[38:39], v[220:221]
	s_nop 0
	v_pk_add_f32 v[220:221], v[226:227], v[220:221]
	v_pk_mul_f32 v[226:227], v[54:55], s[36:37]
	s_nop 0
	v_pk_fma_f32 v[230:231], v[4:5], s[6:7], v[226:227] neg_lo:[1,0,0] neg_hi:[1,0,0]
	v_pk_fma_f32 v[232:233], v[4:5], s[6:7], v[226:227]
	s_nop 0
	v_mov_b32_e32 v231, v233
	v_pk_add_f32 v[220:221], v[230:231], v[220:221]
	v_pk_mul_f32 v[230:231], v[112:113], s[46:47]
	s_nop 0
	v_pk_fma_f32 v[234:235], v[88:89], s[18:19], v[230:231] neg_lo:[1,0,0] neg_hi:[1,0,0]
	v_pk_fma_f32 v[236:237], v[6:7], s[18:19], v[230:231]
	s_nop 0
	v_mov_b32_e32 v235, v237
	;; [unrolled: 7-line block ×7, first 2 shown]
	v_pk_add_f32 v[254:255], v[38:39], v[254:255]
	s_nop 0
	v_pk_add_f32 v[124:125], v[124:125], v[254:255]
	v_pk_mul_f32 v[254:255], v[54:55], s[44:45]
	v_pk_mul_f32 v[54:55], v[54:55], s[46:47]
	v_pk_fma_f32 v[34:35], v[4:5], s[12:13], v[254:255] neg_lo:[1,0,0] neg_hi:[1,0,0]
	v_pk_fma_f32 v[38:39], v[4:5], s[12:13], v[254:255]
	s_nop 0
	v_mov_b32_e32 v35, v39
	v_pk_add_f32 v[34:35], v[34:35], v[124:125]
	v_pk_mul_f32 v[124:125], v[112:113], s[64:65]
	s_nop 0
	v_pk_fma_f32 v[36:37], v[88:89], s[48:49], v[124:125] neg_lo:[1,0,0] neg_hi:[1,0,0]
	v_pk_fma_f32 v[190:191], v[6:7], s[48:49], v[124:125]
	s_nop 0
	v_mov_b32_e32 v37, v191
	v_pk_add_f32 v[34:35], v[36:37], v[34:35]
	v_pk_mul_f32 v[36:37], v[108:109], s[36:37]
	s_nop 0
	v_pk_fma_f32 v[216:217], v[8:9], s[6:7], v[36:37] neg_lo:[1,0,0] neg_hi:[1,0,0]
	v_pk_fma_f32 v[86:87], v[8:9], s[6:7], v[36:37]
	s_nop 0
	v_mov_b32_e32 v217, v87
	v_pk_add_f32 v[34:35], v[216:217], v[34:35]
	v_pk_mul_f32 v[216:217], v[82:83], s[50:51]
	v_pk_mul_f32 v[82:83], v[82:83], s[52:53]
	v_pk_fma_f32 v[224:225], v[62:63], s[20:21], v[216:217] neg_lo:[1,0,0] neg_hi:[1,0,0]
	v_pk_fma_f32 v[114:115], v[10:11], s[20:21], v[216:217]
	v_pk_fma_f32 v[62:63], v[62:63], s[26:27], v[82:83] neg_lo:[1,0,0] neg_hi:[1,0,0]
	v_mov_b32_e32 v225, v115
	v_pk_add_f32 v[34:35], v[224:225], v[34:35]
	v_pk_mul_f32 v[224:225], v[100:101], s[58:59]
	s_nop 0
	v_pk_fma_f32 v[116:117], v[102:103], s[34:35], v[224:225] neg_lo:[1,0,0] neg_hi:[1,0,0]
	v_pk_fma_f32 v[152:153], v[12:13], s[34:35], v[224:225]
	s_nop 0
	v_mov_b32_e32 v117, v153
	v_pk_add_f32 v[34:35], v[116:117], v[34:35]
	v_pk_mul_f32 v[116:117], v[150:151], s[38:39]
	s_nop 0
	v_pk_fma_f32 v[32:33], v[14:15], s[14:15], v[116:117] neg_lo:[1,0,0] neg_hi:[1,0,0]
	v_pk_fma_f32 v[218:219], v[14:15], s[14:15], v[116:117]
	s_nop 0
	v_mov_b32_e32 v33, v219
	v_pk_add_f32 v[32:33], v[32:33], v[34:35]
	ds_write2_b64 v44, v[220:221], v[32:33] offset0:18 offset1:21
	v_pk_mul_f32 v[32:33], v[110:111], s[50:51]
	v_pk_fma_f32 v[110:111], v[28:29], s[28:29], v[26:27]
	v_pk_fma_f32 v[34:35], v[106:107], s[20:21], v[32:33] neg_lo:[1,0,0] neg_hi:[1,0,0]
	v_pk_fma_f32 v[106:107], v[16:17], s[20:21], v[32:33]
	v_mov_b32_e32 v85, v111
	v_mov_b32_e32 v35, v107
	v_pk_add_f32 v[34:35], v[18:19], v[34:35]
	v_pk_fma_f32 v[220:221], v[4:5], s[18:19], v[54:55]
	v_pk_add_f32 v[34:35], v[84:85], v[34:35]
	v_pk_fma_f32 v[84:85], v[4:5], s[18:19], v[54:55] neg_lo:[1,0,0] neg_hi:[1,0,0]
	v_pk_fma_f32 v[32:33], v[16:17], s[20:21], v[32:33] neg_lo:[0,0,1] neg_hi:[0,0,1]
	v_mov_b32_e32 v85, v221
	v_pk_add_f32 v[34:35], v[84:85], v[34:35]
	v_pk_mul_f32 v[84:85], v[112:113], s[58:59]
	v_mov_b32_e32 v107, v33
	v_pk_fma_f32 v[88:89], v[88:89], s[34:35], v[84:85] neg_lo:[1,0,0] neg_hi:[1,0,0]
	v_pk_fma_f32 v[112:113], v[6:7], s[34:35], v[84:85]
	v_pk_fma_f32 v[26:27], v[28:29], s[28:29], v[26:27] neg_lo:[0,0,1] neg_hi:[0,0,1]
	v_mov_b32_e32 v89, v113
	v_pk_add_f32 v[34:35], v[88:89], v[34:35]
	v_pk_mul_f32 v[88:89], v[108:109], s[40:41]
	v_mov_b32_e32 v111, v27
	v_pk_fma_f32 v[108:109], v[8:9], s[16:17], v[88:89] neg_lo:[1,0,0] neg_hi:[1,0,0]
	v_pk_fma_f32 v[2:3], v[8:9], s[16:17], v[88:89]
	v_pk_add_f32 v[26:27], v[18:19], v[106:107]
	v_mov_b32_e32 v109, v3
	v_pk_add_f32 v[34:35], v[108:109], v[34:35]
	v_pk_fma_f32 v[108:109], v[10:11], s[26:27], v[82:83]
	v_pk_fma_f32 v[32:33], v[4:5], s[18:19], v[54:55] neg_lo:[0,0,1] neg_hi:[0,0,1]
	v_mov_b32_e32 v63, v109
	v_pk_add_f32 v[26:27], v[110:111], v[26:27]
	v_mov_b32_e32 v221, v33
	v_pk_fma_f32 v[32:33], v[6:7], s[34:35], v[84:85] neg_lo:[0,0,1] neg_hi:[0,0,1]
	v_pk_add_f32 v[34:35], v[62:63], v[34:35]
	v_pk_mul_f32 v[62:63], v[100:101], s[38:39]
	v_pk_add_f32 v[26:27], v[220:221], v[26:27]
	v_mov_b32_e32 v113, v33
	v_pk_fma_f32 v[32:33], v[8:9], s[16:17], v[88:89] neg_lo:[0,0,1] neg_hi:[0,0,1]
	v_pk_fma_f32 v[100:101], v[102:103], s[14:15], v[62:63] neg_lo:[1,0,0] neg_hi:[1,0,0]
	v_pk_fma_f32 v[102:103], v[12:13], s[14:15], v[62:63]
	v_pk_add_f32 v[26:27], v[112:113], v[26:27]
	v_mov_b32_e32 v3, v33
	v_mov_b32_e32 v101, v103
	v_pk_add_f32 v[2:3], v[2:3], v[26:27]
	v_pk_fma_f32 v[26:27], v[10:11], s[26:27], v[82:83] neg_lo:[0,0,1] neg_hi:[0,0,1]
	v_pk_add_f32 v[34:35], v[100:101], v[34:35]
	v_pk_mul_f32 v[100:101], v[150:151], s[62:63]
	v_mov_b32_e32 v109, v27
	v_pk_fma_f32 v[26:27], v[12:13], s[14:15], v[62:63] neg_lo:[0,0,1] neg_hi:[0,0,1]
	v_pk_fma_f32 v[150:151], v[14:15], s[54:55], v[100:101] neg_lo:[1,0,0] neg_hi:[1,0,0]
	v_pk_fma_f32 v[0:1], v[14:15], s[54:55], v[100:101]
	v_pk_add_f32 v[2:3], v[108:109], v[2:3]
	v_mov_b32_e32 v103, v27
	v_pk_fma_f32 v[26:27], v[14:15], s[54:55], v[100:101] neg_lo:[0,0,1] neg_hi:[0,0,1]
	v_mov_b32_e32 v151, v1
	v_pk_add_f32 v[2:3], v[102:103], v[2:3]
	v_mov_b32_e32 v1, v27
	v_pk_add_f32 v[0:1], v[0:1], v[2:3]
	v_pk_fma_f32 v[2:3], v[4:5], s[12:13], v[254:255] neg_lo:[0,0,1] neg_hi:[0,0,1]
	v_pk_add_f32 v[34:35], v[150:151], v[34:35]
	v_mov_b32_e32 v39, v3
	v_pk_fma_f32 v[2:3], v[6:7], s[48:49], v[124:125] neg_lo:[0,0,1] neg_hi:[0,0,1]
	ds_write2_b64 v44, v[34:35], v[0:1] offset0:24 offset1:27
	v_mov_b32_e32 v191, v3
	v_pk_fma_f32 v[2:3], v[8:9], s[6:7], v[36:37] neg_lo:[0,0,1] neg_hi:[0,0,1]
	v_pk_fma_f32 v[0:1], v[16:17], s[18:19], v[250:251] neg_lo:[0,0,1] neg_hi:[0,0,1]
	v_mov_b32_e32 v87, v3
	v_pk_fma_f32 v[2:3], v[10:11], s[20:21], v[216:217] neg_lo:[0,0,1] neg_hi:[0,0,1]
	v_mov_b32_e32 v31, v1
	v_mov_b32_e32 v115, v3
	v_pk_fma_f32 v[2:3], v[12:13], s[34:35], v[224:225] neg_lo:[0,0,1] neg_hi:[0,0,1]
	v_pk_fma_f32 v[0:1], v[28:29], s[26:27], v[42:43] neg_lo:[0,0,1] neg_hi:[0,0,1]
	v_mov_b32_e32 v153, v3
	v_pk_fma_f32 v[2:3], v[14:15], s[14:15], v[116:117] neg_lo:[0,0,1] neg_hi:[0,0,1]
	v_mov_b32_e32 v159, v1
	v_mov_b32_e32 v219, v3
	v_pk_fma_f32 v[2:3], v[16:17], s[16:17], v[40:41] neg_lo:[0,0,1] neg_hi:[0,0,1]
	v_pk_add_f32 v[0:1], v[18:19], v[30:31]
	v_mov_b32_e32 v223, v3
	v_pk_fma_f32 v[2:3], v[28:29], s[24:25], v[22:23] neg_lo:[0,0,1] neg_hi:[0,0,1]
	v_mov_b64_e32 v[22:23], v[18:19]
	v_mov_b32_e32 v229, v3
	v_pk_add_f32 v[2:3], v[18:19], v[222:223]
	v_pk_fma_f32 v[18:19], v[4:5], s[6:7], v[226:227] neg_lo:[0,0,1] neg_hi:[0,0,1]
	v_pk_add_f32 v[0:1], v[158:159], v[0:1]
	v_pk_add_f32 v[2:3], v[228:229], v[2:3]
	v_mov_b32_e32 v233, v19
	v_pk_fma_f32 v[18:19], v[6:7], s[18:19], v[230:231] neg_lo:[0,0,1] neg_hi:[0,0,1]
	v_pk_add_f32 v[0:1], v[38:39], v[0:1]
	v_pk_add_f32 v[2:3], v[232:233], v[2:3]
	v_mov_b32_e32 v237, v19
	;; [unrolled: 4-line block ×6, first 2 shown]
	v_pk_add_f32 v[0:1], v[218:219], v[0:1]
	v_pk_add_f32 v[2:3], v[252:253], v[2:3]
	ds_write2_b64 v44, v[0:1], v[2:3] offset0:30 offset1:33
	v_pk_fma_f32 v[2:3], v[4:5], s[34:35], v[194:195] neg_lo:[0,0,1] neg_hi:[0,0,1]
	v_pk_fma_f32 v[0:1], v[16:17], s[14:15], v[186:187] neg_lo:[0,0,1] neg_hi:[0,0,1]
	v_mov_b32_e32 v193, v3
	v_pk_fma_f32 v[2:3], v[6:7], s[10:11], v[198:199] neg_lo:[0,0,1] neg_hi:[0,0,1]
	v_mov_b32_e32 v185, v1
	v_mov_b32_e32 v197, v3
	v_pk_fma_f32 v[2:3], v[8:9], s[20:21], v[202:203] neg_lo:[0,0,1] neg_hi:[0,0,1]
	v_pk_fma_f32 v[0:1], v[28:29], s[22:23], v[52:53] neg_lo:[0,0,1] neg_hi:[0,0,1]
	v_mov_b32_e32 v201, v3
	v_pk_fma_f32 v[2:3], v[10:11], s[54:55], v[206:207] neg_lo:[0,0,1] neg_hi:[0,0,1]
	v_mov_b32_e32 v189, v1
	v_mov_b32_e32 v205, v3
	v_pk_fma_f32 v[2:3], v[12:13], s[6:7], v[210:211] neg_lo:[0,0,1] neg_hi:[0,0,1]
	v_pk_add_f32 v[0:1], v[22:23], v[184:185]
	v_mov_b32_e32 v209, v3
	v_pk_fma_f32 v[2:3], v[14:15], s[16:17], v[214:215] neg_lo:[0,0,1] neg_hi:[0,0,1]
	v_pk_fma_f32 v[18:19], v[4:5], s[24:25], v[162:163] neg_lo:[0,0,1] neg_hi:[0,0,1]
	v_mov_b32_e32 v213, v3
	v_pk_fma_f32 v[2:3], v[16:17], s[12:13], v[154:155] neg_lo:[0,0,1] neg_hi:[0,0,1]
	v_pk_add_f32 v[0:1], v[188:189], v[0:1]
	v_mov_b32_e32 v21, v3
	v_pk_fma_f32 v[2:3], v[28:29], s[20:21], v[56:57] neg_lo:[0,0,1] neg_hi:[0,0,1]
	v_mov_b32_e32 v161, v19
	v_mov_b32_e32 v157, v3
	v_pk_add_f32 v[2:3], v[22:23], v[20:21]
	v_pk_fma_f32 v[18:19], v[6:7], s[28:29], v[166:167] neg_lo:[0,0,1] neg_hi:[0,0,1]
	v_pk_add_f32 v[2:3], v[156:157], v[2:3]
	v_pk_add_f32 v[0:1], v[192:193], v[0:1]
	;; [unrolled: 1-line block ×3, first 2 shown]
	v_mov_b32_e32 v165, v19
	v_pk_fma_f32 v[18:19], v[8:9], s[10:11], v[170:171] neg_lo:[0,0,1] neg_hi:[0,0,1]
	v_pk_add_f32 v[0:1], v[196:197], v[0:1]
	v_pk_add_f32 v[2:3], v[164:165], v[2:3]
	v_mov_b32_e32 v169, v19
	v_pk_fma_f32 v[18:19], v[10:11], s[18:19], v[174:175] neg_lo:[0,0,1] neg_hi:[0,0,1]
	v_pk_add_f32 v[0:1], v[200:201], v[0:1]
	v_pk_add_f32 v[2:3], v[168:169], v[2:3]
	;; [unrolled: 4-line block ×4, first 2 shown]
	v_mov_b32_e32 v181, v19
	v_pk_add_f32 v[0:1], v[212:213], v[0:1]
	v_pk_add_f32 v[2:3], v[180:181], v[2:3]
	ds_write2_b64 v44, v[0:1], v[2:3] offset0:36 offset1:39
	v_pk_fma_f32 v[2:3], v[4:5], s[30:31], v[128:129] neg_lo:[0,0,1] neg_hi:[0,0,1]
	v_pk_fma_f32 v[0:1], v[16:17], s[10:11], v[120:121] neg_lo:[0,0,1] neg_hi:[0,0,1]
	v_mov_b32_e32 v127, v3
	v_pk_fma_f32 v[2:3], v[6:7], s[24:25], v[132:133] neg_lo:[0,0,1] neg_hi:[0,0,1]
	v_mov_b32_e32 v119, v1
	v_mov_b32_e32 v131, v3
	v_pk_fma_f32 v[2:3], v[8:9], s[34:35], v[136:137] neg_lo:[0,0,1] neg_hi:[0,0,1]
	v_pk_fma_f32 v[0:1], v[28:29], s[16:17], v[60:61] neg_lo:[0,0,1] neg_hi:[0,0,1]
	v_mov_b32_e32 v135, v3
	v_pk_fma_f32 v[2:3], v[10:11], s[6:7], v[140:141] neg_lo:[0,0,1] neg_hi:[0,0,1]
	v_mov_b32_e32 v123, v1
	v_mov_b32_e32 v139, v3
	v_pk_fma_f32 v[2:3], v[12:13], s[12:13], v[144:145] neg_lo:[0,0,1] neg_hi:[0,0,1]
	v_pk_add_f32 v[0:1], v[22:23], v[118:119]
	v_mov_b32_e32 v143, v3
	v_pk_fma_f32 v[2:3], v[14:15], s[18:19], v[148:149] neg_lo:[0,0,1] neg_hi:[0,0,1]
	v_pk_fma_f32 v[18:19], v[4:5], s[16:17], v[72:73] neg_lo:[0,0,1] neg_hi:[0,0,1]
	v_mov_b32_e32 v147, v3
	v_accvgpr_read_b32 v2, a34
	v_accvgpr_read_b32 v3, a35
	v_pk_fma_f32 v[2:3], v[16:17], s[8:9], v[2:3] neg_lo:[0,0,1] neg_hi:[0,0,1]
	v_pk_add_f32 v[0:1], v[122:123], v[0:1]
	v_mov_b32_e32 v25, v3
	v_pk_fma_f32 v[2:3], v[28:29], s[12:13], v[64:65] neg_lo:[0,0,1] neg_hi:[0,0,1]
	v_mov_b32_e32 v71, v19
	v_mov_b32_e32 v67, v3
	v_pk_add_f32 v[2:3], v[22:23], v[24:25]
	v_pk_fma_f32 v[18:19], v[6:7], s[20:21], v[76:77] neg_lo:[0,0,1] neg_hi:[0,0,1]
	v_pk_add_f32 v[2:3], v[66:67], v[2:3]
	v_pk_add_f32 v[0:1], v[126:127], v[0:1]
	;; [unrolled: 1-line block ×3, first 2 shown]
	v_mov_b32_e32 v75, v19
	v_pk_fma_f32 v[18:19], v[8:9], s[22:23], v[80:81] neg_lo:[0,0,1] neg_hi:[0,0,1]
	v_pk_add_f32 v[0:1], v[130:131], v[0:1]
	v_pk_add_f32 v[2:3], v[74:75], v[2:3]
	v_mov_b32_e32 v79, v19
	v_pk_fma_f32 v[18:19], v[10:11], s[24:25], v[92:93] neg_lo:[0,0,1] neg_hi:[0,0,1]
	v_pk_add_f32 v[0:1], v[134:135], v[0:1]
	v_pk_add_f32 v[2:3], v[78:79], v[2:3]
	v_mov_b32_e32 v91, v19
	v_pk_fma_f32 v[18:19], v[12:13], s[26:27], v[96:97] neg_lo:[0,0,1] neg_hi:[0,0,1]
	v_pk_add_f32 v[0:1], v[138:139], v[0:1]
	v_pk_add_f32 v[2:3], v[90:91], v[2:3]
	v_mov_b32_e32 v95, v19
	v_pk_fma_f32 v[18:19], v[14:15], s[28:29], v[104:105] neg_lo:[0,0,1] neg_hi:[0,0,1]
	v_pk_add_f32 v[0:1], v[142:143], v[0:1]
	v_pk_add_f32 v[2:3], v[94:95], v[2:3]
	v_mov_b32_e32 v99, v19
	v_pk_add_f32 v[0:1], v[146:147], v[0:1]
	v_pk_add_f32 v[2:3], v[98:99], v[2:3]
	ds_write2_b64 v44, v[0:1], v[2:3] offset0:42 offset1:45
	v_accvgpr_read_b32 v0, a14
	v_accvgpr_read_b32 v1, a15
	;; [unrolled: 1-line block ×3, first 2 shown]
	v_pk_fma_f32 v[0:1], v[16:17], s[6:7], v[0:1] neg_lo:[0,0,1] neg_hi:[0,0,1]
	v_accvgpr_read_b32 v3, a19
	v_accvgpr_read_b32 v0, a12
	v_pk_fma_f32 v[2:3], v[28:29], s[8:9], v[2:3] neg_lo:[0,0,1] neg_hi:[0,0,1]
	v_pk_add_f32 v[0:1], v[22:23], v[0:1]
	v_accvgpr_read_b32 v2, a16
	v_pk_add_f32 v[0:1], v[2:3], v[0:1]
	v_accvgpr_read_b32 v2, a22
	v_accvgpr_read_b32 v3, a23
	v_pk_fma_f32 v[2:3], v[4:5], s[10:11], v[2:3] neg_lo:[0,0,1] neg_hi:[0,0,1]
	v_accvgpr_read_b32 v83, a3
	v_accvgpr_read_b32 v2, a20
	v_pk_add_f32 v[0:1], v[2:3], v[0:1]
	v_accvgpr_read_b32 v2, a24
	v_accvgpr_read_b32 v3, a25
	v_pk_fma_f32 v[2:3], v[6:7], s[12:13], v[2:3] neg_lo:[0,0,1] neg_hi:[0,0,1]
	v_accvgpr_read_b32 v84, a4
	v_mov_b32_e32 v69, v3
	v_accvgpr_read_b32 v2, a26
	v_accvgpr_read_b32 v3, a27
	v_pk_fma_f32 v[2:3], v[8:9], s[14:15], v[2:3] neg_lo:[0,0,1] neg_hi:[0,0,1]
	v_pk_add_f32 v[0:1], v[68:69], v[0:1]
	v_mov_b32_e32 v49, v3
	v_accvgpr_read_b32 v2, a28
	v_accvgpr_read_b32 v3, a29
	v_pk_fma_f32 v[2:3], v[10:11], s[16:17], v[2:3] neg_lo:[0,0,1] neg_hi:[0,0,1]
	v_pk_add_f32 v[0:1], v[48:49], v[0:1]
	;; [unrolled: 5-line block ×4, first 2 shown]
	v_mov_b32_e32 v59, v3
	v_accvgpr_read_b32 v88, a8
	v_accvgpr_read_b32 v82, a2
	;; [unrolled: 1-line block ×6, first 2 shown]
	v_pk_add_f32 v[0:1], v[58:59], v[0:1]
	ds_write_b64 v44, v[0:1] offset:384
.LBB0_21:
	s_or_b64 exec, exec, s[2:3]
	v_mul_u32_u24_e32 v0, 6, v80
	v_lshlrev_b32_e32 v4, 3, v0
	s_waitcnt lgkmcnt(0)
	; wave barrier
	s_waitcnt lgkmcnt(0)
	global_load_dwordx4 v[8:11], v4, s[4:5] offset:400
	global_load_dwordx4 v[0:3], v4, s[4:5] offset:384
	;; [unrolled: 1-line block ×3, first 2 shown]
	v_add_u32_e32 v19, 0x400, v79
	ds_read2_b64 v[4:7], v79 offset1:153
	v_lshl_add_u32 v17, v90, 3, 0
	v_lshl_add_u32 v16, v84, 3, 0
	v_add_u32_e32 v21, 0x800, v79
	v_lshl_add_u32 v18, v88, 3, 0
	v_add_u32_e32 v20, 0x1000, v79
	ds_read2_b64 v[22:25], v19 offset0:127 offset1:178
	ds_read2_b64 v[40:43], v21 offset0:101 offset1:152
	ds_read_b64 v[26:27], v17
	ds_read_b64 v[28:29], v16
	ds_read2_b64 v[44:47], v21 offset0:203 offset1:254
	ds_read_b64 v[30:31], v18
	ds_read2_b64 v[48:51], v20 offset0:49 offset1:100
	s_waitcnt lgkmcnt(5)
	v_mov_b32_e32 v35, v43
	s_waitcnt lgkmcnt(3)
	v_mov_b32_e32 v34, v28
	v_mov_b32_e32 v28, v29
	;; [unrolled: 1-line block ×4, first 2 shown]
	s_waitcnt lgkmcnt(2)
	v_mov_b32_e32 v36, v47
	v_mov_b32_e32 v32, v27
	s_mov_b32 s2, 0x3eae86e6
	s_mov_b32 s14, 0x3d64c772
	s_mov_b32 s3, 0xbf08b237
	s_mov_b32 s15, 0x3f4a47b2
	s_mov_b32 s18, s3
	s_mov_b32 s19, s2
	s_mov_b32 s16, s15
	s_mov_b32 s17, s14
	s_mov_b32 s12, 0x3f955555
	s_mov_b32 s8, 0x3f5ff5aa
	s_mov_b32 s10, 0x3f3bfb3b
	s_mov_b32 s6, 0x3ee1c552
	v_mov_b32_e32 v81, 0
	v_mov_b32_e32 v85, v81
	;; [unrolled: 1-line block ×5, first 2 shown]
	s_waitcnt vmcnt(2)
	v_mul_f32_e32 v39, v9, v24
	s_waitcnt vmcnt(1)
	v_pk_mul_f32 v[52:53], v[22:23], v[2:3]
	v_mul_f32_e32 v33, v45, v10
	v_mul_f32_e32 v55, v44, v11
	v_mov_b32_e32 v24, v3
	v_mov_b32_e32 v61, v10
	;; [unrolled: 1-line block ×3, first 2 shown]
	v_mul_f32_e32 v43, v10, v43
	v_mul_f32_e32 v11, v11, v42
	s_waitcnt vmcnt(0) lgkmcnt(0)
	v_pk_mul_f32 v[66:67], v[50:51], v[14:15] op_sel_hi:[1,0]
	v_mov_b32_e32 v52, v15
	v_mov_b32_e32 v54, v15
	;; [unrolled: 1-line block ×3, first 2 shown]
	v_mul_f32_e32 v72, v8, v25
	v_mul_f32_e32 v38, v47, v13
	v_pk_mul_f32 v[56:57], v[48:49], v[12:13]
	v_pk_mul_f32 v[58:59], v[0:1], v[26:27] op_sel_hi:[1,0]
	v_mov_b32_e32 v47, v25
	v_pk_mul_f32 v[24:25], v[24:25], v[28:29]
	v_pk_fma_f32 v[68:69], v[50:51], v[52:53], v[66:67] op_sel:[0,0,1] op_sel_hi:[1,1,0]
	v_pk_fma_f32 v[50:51], v[50:51], v[54:55], v[66:67] op_sel:[0,0,1] op_sel_hi:[1,0,0] neg_lo:[1,0,0] neg_hi:[1,0,0]
	v_pk_fma_f32 v[66:67], v[22:23], v[2:3], v[10:11] neg_lo:[0,0,1] neg_hi:[0,0,1]
	v_mov_b32_e32 v62, v3
	v_mov_b32_e32 v65, v8
	;; [unrolled: 1-line block ×3, first 2 shown]
	v_pk_fma_f32 v[26:27], v[0:1], v[26:27], v[58:59] op_sel:[0,1,1] op_sel_hi:[1,1,0] neg_lo:[1,0,0] neg_hi:[1,0,0]
	v_pk_fma_f32 v[24:25], v[2:3], v[34:35], v[24:25] neg_lo:[0,0,1] neg_hi:[0,0,1]
	v_mul_f32_e32 v67, v41, v8
	v_mov_b32_e32 v8, v13
	v_mov_b32_e32 v60, v2
	;; [unrolled: 1-line block ×3, first 2 shown]
	v_fma_f32 v38, v46, v12, -v38
	v_pk_fma_f32 v[56:57], v[0:1], v[32:33], v[58:59] op_sel:[0,0,1] op_sel_hi:[1,1,0]
	v_pk_mul_f32 v[58:59], v[62:63], v[34:35]
	v_pk_fma_f32 v[70:71], v[48:49], v[12:13], v[42:43] neg_lo:[0,0,1] neg_hi:[0,0,1]
	v_mov_b32_e32 v42, v27
	v_mov_b32_e32 v10, v51
	;; [unrolled: 1-line block ×3, first 2 shown]
	v_pk_mul_f32 v[46:47], v[8:9], v[46:47]
	v_pk_fma_f32 v[34:35], v[2:3], v[28:29], v[58:59]
	v_pk_fma_f32 v[28:29], v[60:61], v[28:29], v[58:59] neg_lo:[0,0,1] neg_hi:[0,0,1]
	v_pk_add_f32 v[10:11], v[42:43], v[10:11]
	v_mov_b32_e32 v43, v24
	v_pk_add_f32 v[24:25], v[24:25], v[38:39]
	v_pk_fma_f32 v[58:59], v[12:13], v[36:37], v[46:47]
	v_pk_fma_f32 v[36:37], v[64:65], v[36:37], v[46:47] neg_lo:[0,0,1] neg_hi:[0,0,1]
	v_mov_b32_e32 v57, v27
	v_mov_b32_e32 v69, v51
	;; [unrolled: 1-line block ×7, first 2 shown]
	v_pk_add_f32 v[50:51], v[56:57], v[68:69]
	v_pk_add_f32 v[26:27], v[42:43], v[26:27] neg_lo:[0,1] neg_hi:[0,1]
	v_pk_add_f32 v[42:43], v[34:35], v[58:59]
	v_mov_b32_e32 v36, v37
	v_mov_b32_e32 v37, v42
	;; [unrolled: 1-line block ×4, first 2 shown]
	v_pk_add_f32 v[56:57], v[56:57], v[68:69] neg_lo:[0,1] neg_hi:[0,1]
	v_pk_add_f32 v[34:35], v[34:35], v[58:59] neg_lo:[0,1] neg_hi:[0,1]
	v_pk_add_f32 v[72:73], v[24:25], v[10:11]
	v_pk_add_f32 v[28:29], v[36:37], v[28:29]
	v_mov_b32_e32 v38, v56
	v_mov_b32_e32 v39, v35
	;; [unrolled: 1-line block ×10, first 2 shown]
	v_pk_add_f32 v[38:39], v[38:39], v[26:27] neg_lo:[0,1] neg_hi:[0,1]
	v_pk_add_f32 v[58:59], v[58:59], v[34:35] neg_lo:[0,1] neg_hi:[0,1]
	;; [unrolled: 1-line block ×4, first 2 shown]
	v_pk_mul_f32 v[46:47], v[38:39], s[2:3]
	v_pk_mul_f32 v[58:59], v[58:59], s[18:19]
	v_pk_add_f32 v[68:69], v[34:35], v[26:27]
	v_pk_add_f32 v[28:29], v[72:73], v[28:29]
	v_pk_mul_f32 v[36:37], v[36:37], s[14:15]
	v_pk_mul_f32 v[72:73], v[74:75], s[16:17]
	v_mov_b32_e32 v35, v27
	v_mov_b32_e32 v25, v42
	;; [unrolled: 1-line block ×3, first 2 shown]
	v_pk_add_f32 v[4:5], v[28:29], v[4:5]
	v_pk_add_f32 v[26:27], v[34:35], v[56:57] neg_lo:[0,1] neg_hi:[0,1]
	v_pk_add_f32 v[10:11], v[24:25], v[10:11] neg_lo:[0,1] neg_hi:[0,1]
	v_mov_b32_e32 v24, v72
	v_mov_b32_e32 v25, v37
	v_mov_b32_e32 v34, v46
	v_mov_b32_e32 v35, v59
	v_pk_add_f32 v[68:69], v[68:69], v[56:57]
	v_pk_fma_f32 v[28:29], v[28:29], s[12:13], v[4:5] op_sel_hi:[1,0,1] neg_lo:[1,0,0] neg_hi:[1,0,0]
	v_pk_fma_f32 v[24:25], v[10:11], s[10:11], v[24:25] op_sel_hi:[1,0,1] neg_lo:[1,0,1] neg_hi:[1,0,1]
	;; [unrolled: 1-line block ×3, first 2 shown]
	v_pk_fma_f32 v[74:75], v[74:75], s[16:17], v[36:37]
	v_pk_add_f32 v[24:25], v[24:25], v[28:29]
	v_pk_fma_f32 v[34:35], v[68:69], s[6:7], v[34:35] op_sel_hi:[1,0,1]
	v_mov_b32_e32 v37, v73
	v_pk_add_f32 v[42:43], v[24:25], v[34:35]
	v_pk_add_f32 v[24:25], v[24:25], v[34:35] neg_lo:[0,1] neg_hi:[0,1]
	v_pk_fma_f32 v[10:11], v[10:11], s[10:11], v[36:37] op_sel_hi:[1,0,1] neg_lo:[0,0,1] neg_hi:[0,0,1]
	ds_read_b64 v[34:35], v79 offset:5304
	v_mov_b32_e32 v36, v23
	v_mov_b32_e32 v23, v45
	;; [unrolled: 1-line block ×3, first 2 shown]
	v_pk_mul_f32 v[22:23], v[22:23], v[62:63]
	v_mul_f32_e32 v78, v40, v9
	v_pk_fma_f32 v[2:3], v[36:37], v[2:3], v[22:23]
	v_pk_fma_f32 v[22:23], v[36:37], v[60:61], v[22:23] neg_lo:[0,0,1] neg_hi:[0,0,1]
	v_mov_b32_e32 v36, v49
	v_mov_b32_e32 v49, v41
	;; [unrolled: 1-line block ×3, first 2 shown]
	v_pk_mul_f32 v[8:9], v[48:49], v[8:9]
	v_pk_fma_f32 v[38:39], v[38:39], s[2:3], v[58:59]
	v_pk_fma_f32 v[12:13], v[36:37], v[12:13], v[8:9]
	v_pk_fma_f32 v[8:9], v[36:37], v[64:65], v[8:9] neg_lo:[0,0,1] neg_hi:[0,0,1]
	v_mov_b32_e32 v59, v47
	v_mov_b32_e32 v3, v23
	;; [unrolled: 1-line block ×3, first 2 shown]
	s_waitcnt lgkmcnt(0)
	v_pk_mul_f32 v[14:15], v[34:35], v[14:15] op_sel_hi:[1,0]
	v_pk_add_f32 v[74:75], v[74:75], v[28:29]
	v_pk_fma_f32 v[38:39], v[68:69], s[6:7], v[38:39] op_sel_hi:[1,0,1]
	v_pk_fma_f32 v[26:27], v[26:27], s[8:9], v[58:59] op_sel_hi:[1,0,1] neg_lo:[0,0,1] neg_hi:[0,0,1]
	v_pk_fma_f32 v[36:37], v[34:35], v[52:53], v[14:15] op_sel:[0,0,1] op_sel_hi:[1,1,0]
	v_pk_fma_f32 v[14:15], v[34:35], v[54:55], v[14:15] op_sel:[0,0,1] op_sel_hi:[1,0,0] neg_lo:[1,0,0] neg_hi:[1,0,0]
	v_pk_add_f32 v[34:35], v[2:3], v[12:13]
	v_pk_add_f32 v[2:3], v[2:3], v[12:13] neg_lo:[0,1] neg_hi:[0,1]
	v_pk_mul_f32 v[12:13], v[6:7], v[0:1] op_sel_hi:[1,0]
	v_pk_add_f32 v[76:77], v[74:75], v[38:39]
	v_pk_add_f32 v[38:39], v[74:75], v[38:39] neg_lo:[0,1] neg_hi:[0,1]
	v_pk_add_f32 v[10:11], v[10:11], v[28:29]
	v_pk_fma_f32 v[26:27], v[68:69], s[6:7], v[26:27] op_sel_hi:[1,0,1]
	v_pk_fma_f32 v[40:41], v[6:7], v[0:1], v[12:13] op_sel:[0,1,1] op_sel_hi:[1,1,0]
	v_pk_fma_f32 v[0:1], v[6:7], v[0:1], v[12:13] op_sel:[0,1,1] op_sel_hi:[1,1,0] neg_lo:[1,0,0] neg_hi:[1,0,0]
	v_pk_add_f32 v[28:29], v[10:11], v[26:27] neg_lo:[0,1] neg_hi:[0,1]
	v_pk_add_f32 v[10:11], v[10:11], v[26:27]
	v_mov_b32_e32 v71, v78
	v_mov_b32_e32 v37, v15
	;; [unrolled: 1-line block ×7, first 2 shown]
	v_pk_add_f32 v[26:27], v[66:67], v[70:71]
	v_pk_add_f32 v[6:7], v[40:41], v[36:37]
	;; [unrolled: 1-line block ×3, first 2 shown]
	s_waitcnt lgkmcnt(0)
	; wave barrier
	ds_write2_b64 v79, v[4:5], v[46:47] offset1:51
	v_mov_b32_e32 v4, v42
	v_mov_b32_e32 v5, v25
	;; [unrolled: 1-line block ×8, first 2 shown]
	ds_write2_b64 v79, v[4:5], v[46:47] offset0:102 offset1:153
	v_mov_b32_e32 v4, v9
	v_mov_b32_e32 v5, v34
	;; [unrolled: 1-line block ×4, first 2 shown]
	v_pk_add_f32 v[12:13], v[40:41], v[36:37] neg_lo:[0,1] neg_hi:[0,1]
	v_pk_add_f32 v[14:15], v[14:15], v[32:33] neg_lo:[0,1] neg_hi:[0,1]
	v_mov_b32_e32 v11, v29
	v_mov_b32_e32 v25, v43
	v_pk_add_f32 v[4:5], v[4:5], v[8:9]
	v_pk_add_f32 v[8:9], v[26:27], v[0:1]
	v_mov_b32_e32 v32, v12
	v_mov_b32_e32 v33, v3
	;; [unrolled: 1-line block ×4, first 2 shown]
	ds_write2_b64 v79, v[10:11], v[24:25] offset0:204 offset1:255
	v_mov_b32_e32 v1, v9
	v_mov_b32_e32 v10, v4
	;; [unrolled: 1-line block ×6, first 2 shown]
	v_pk_add_f32 v[32:33], v[32:33], v[14:15] neg_lo:[0,1] neg_hi:[0,1]
	v_pk_add_f32 v[40:41], v[40:41], v[2:3] neg_lo:[0,1] neg_hi:[0,1]
	;; [unrolled: 1-line block ×4, first 2 shown]
	v_pk_mul_f32 v[36:37], v[32:33], s[2:3]
	v_pk_mul_f32 v[40:41], v[40:41], s[18:19]
	v_pk_add_f32 v[44:45], v[2:3], v[14:15]
	v_pk_add_f32 v[4:5], v[8:9], v[4:5]
	v_pk_mul_f32 v[24:25], v[10:11], s[16:17]
	v_pk_mul_f32 v[22:23], v[22:23], s[14:15]
	v_mov_b32_e32 v3, v15
	v_mov_b32_e32 v27, v34
	;; [unrolled: 1-line block ×3, first 2 shown]
	v_pk_add_f32 v[44:45], v[44:45], v[12:13]
	v_pk_add_f32 v[8:9], v[4:5], v[30:31]
	v_pk_fma_f32 v[10:11], v[10:11], s[16:17], v[22:23]
	v_pk_fma_f32 v[28:29], v[32:33], s[2:3], v[40:41]
	v_pk_add_f32 v[2:3], v[2:3], v[12:13] neg_lo:[0,1] neg_hi:[0,1]
	v_pk_add_f32 v[0:1], v[26:27], v[0:1] neg_lo:[0,1] neg_hi:[0,1]
	v_mov_b32_e32 v6, v24
	v_mov_b32_e32 v7, v23
	;; [unrolled: 1-line block ×6, first 2 shown]
	v_pk_fma_f32 v[4:5], v[4:5], s[12:13], v[8:9] op_sel_hi:[1,0,1] neg_lo:[1,0,0] neg_hi:[1,0,0]
	v_pk_fma_f32 v[6:7], v[0:1], s[10:11], v[6:7] op_sel_hi:[1,0,1] neg_lo:[1,0,1] neg_hi:[1,0,1]
	;; [unrolled: 1-line block ×5, first 2 shown]
	v_pk_add_f32 v[0:1], v[0:1], v[4:5]
	v_pk_fma_f32 v[2:3], v[44:45], s[6:7], v[2:3] op_sel_hi:[1,0,1]
	v_pk_add_f32 v[10:11], v[10:11], v[4:5]
	v_pk_fma_f32 v[28:29], v[44:45], s[6:7], v[28:29] op_sel_hi:[1,0,1]
	;; [unrolled: 2-line block ×3, first 2 shown]
	v_pk_add_f32 v[4:5], v[0:1], v[2:3] neg_lo:[0,1] neg_hi:[0,1]
	v_pk_add_f32 v[0:1], v[0:1], v[2:3]
	v_mov_b32_e32 v39, v77
	v_pk_add_f32 v[30:31], v[10:11], v[28:29]
	v_pk_add_f32 v[10:11], v[10:11], v[28:29] neg_lo:[0,1] neg_hi:[0,1]
	v_pk_add_f32 v[14:15], v[6:7], v[12:13]
	v_pk_add_f32 v[6:7], v[6:7], v[12:13] neg_lo:[0,1] neg_hi:[0,1]
	v_mov_b32_e32 v2, v4
	v_mov_b32_e32 v3, v1
	;; [unrolled: 1-line block ×3, first 2 shown]
	v_add_u32_e32 v4, 0xc00, v79
	ds_write2_b64 v21, v[38:39], v[8:9] offset0:50 offset1:101
	v_mov_b32_e32 v8, v30
	v_mov_b32_e32 v9, v11
	;; [unrolled: 1-line block ×4, first 2 shown]
	ds_write2_b64 v4, v[2:3], v[0:1] offset0:126 offset1:177
	v_mov_b32_e32 v7, v15
	v_mov_b32_e32 v11, v31
	v_lshl_add_u64 v[0:1], v[80:81], 3, s[4:5]
	s_movk_i32 s2, 0x1000
	ds_write2_b64 v21, v[8:9], v[12:13] offset0:152 offset1:203
	ds_write2_b64 v20, v[6:7], v[10:11] offset0:100 offset1:151
	s_waitcnt lgkmcnt(0)
	; wave barrier
	s_waitcnt lgkmcnt(0)
	global_load_dwordx2 v[14:15], v[0:1], off offset:2832
	v_add_co_u32_e32 v0, vcc, s2, v0
	v_lshl_add_u32 v9, v86, 3, 0
	s_nop 0
	v_addc_co_u32_e32 v1, vcc, 0, v1, vcc
	global_load_dwordx2 v[26:27], v[0:1], off offset:776
	global_load_dwordx2 v[28:29], v[0:1], off offset:1184
	v_lshl_add_u64 v[0:1], v[84:85], 3, s[4:5]
	global_load_dwordx2 v[30:31], v[0:1], off offset:2832
	v_lshl_add_u64 v[0:1], v[86:87], 3, s[4:5]
	;; [unrolled: 2-line block ×4, first 2 shown]
	global_load_dwordx2 v[36:37], v[0:1], off offset:2832
	ds_read2_b64 v[0:3], v79 offset1:255
	ds_read2_b64 v[4:7], v21 offset0:50 offset1:101
	ds_read2_b64 v[10:13], v21 offset0:152 offset1:203
	ds_read_b64 v[38:39], v17
	ds_read_b64 v[40:41], v9
	ds_read_b64 v[42:43], v79 offset:4080
	ds_read_b64 v[44:45], v18
	ds_read_b64 v[46:47], v16
	ds_read2_b32 v[48:49], v20 offset0:98 offset1:99
	ds_read2_b64 v[22:25], v20 offset0:100 offset1:151
	s_waitcnt lgkmcnt(0)
	; wave barrier
	s_waitcnt lgkmcnt(0)
	s_add_u32 s2, s4, 0x1638
	v_mov_b32_e32 v8, v49
	s_addc_u32 s3, s5, 0
	v_cmp_ne_u32_e32 vcc, 0, v80
	s_waitcnt vmcnt(6)
	v_pk_mul_f32 v[50:51], v[14:15], v[6:7] op_sel:[0,1]
	s_nop 0
	v_pk_fma_f32 v[52:53], v[14:15], v[6:7], v[50:51] op_sel:[0,0,1] op_sel_hi:[1,1,0] neg_lo:[0,0,1] neg_hi:[0,0,1]
	v_pk_fma_f32 v[6:7], v[14:15], v[6:7], v[50:51] op_sel:[0,0,1] op_sel_hi:[1,0,0]
	s_waitcnt vmcnt(5)
	v_pk_mul_f32 v[14:15], v[22:23], v[26:27] op_sel:[0,1]
	s_nop 0
	v_pk_fma_f32 v[50:51], v[22:23], v[26:27], v[14:15] op_sel:[0,0,1] op_sel_hi:[1,1,0] neg_lo:[0,0,1] neg_hi:[0,0,1]
	v_pk_fma_f32 v[14:15], v[22:23], v[26:27], v[14:15] op_sel:[0,0,1] op_sel_hi:[1,0,0]
	s_waitcnt vmcnt(4)
	v_pk_mul_f32 v[22:23], v[24:25], v[28:29] op_sel:[0,1]
	v_mov_b32_e32 v53, v7
	v_pk_fma_f32 v[26:27], v[24:25], v[28:29], v[22:23] op_sel:[0,0,1] op_sel_hi:[1,1,0] neg_lo:[0,0,1] neg_hi:[0,0,1]
	v_pk_fma_f32 v[22:23], v[24:25], v[28:29], v[22:23] op_sel:[0,0,1] op_sel_hi:[1,0,0]
	s_waitcnt vmcnt(3)
	v_pk_mul_f32 v[24:25], v[8:9], v[30:31] op_sel_hi:[0,1]
	v_mov_b32_e32 v27, v23
	s_waitcnt vmcnt(2)
	v_pk_mul_f32 v[28:29], v[32:33], v[42:43] op_sel:[0,1]
	v_pk_add_f32 v[22:23], v[4:5], v[26:27] neg_lo:[0,1] neg_hi:[0,1]
	v_pk_fma_f32 v[26:27], v[30:31], v[48:49], v[24:25] op_sel:[0,0,1] op_sel_hi:[1,1,0] neg_lo:[0,0,1] neg_hi:[0,0,1]
	v_pk_fma_f32 v[24:25], v[30:31], v[48:49], v[24:25] op_sel:[0,0,1] op_sel_hi:[1,0,0]
	v_pk_fma_f32 v[30:31], v[32:33], v[42:43], v[28:29] op_sel:[0,0,1] op_sel_hi:[1,1,0] neg_lo:[0,0,1] neg_hi:[0,0,1]
	v_pk_fma_f32 v[28:29], v[32:33], v[42:43], v[28:29] op_sel:[0,0,1] op_sel_hi:[1,0,0]
	s_waitcnt vmcnt(1)
	v_pk_mul_f32 v[32:33], v[34:35], v[12:13] op_sel:[0,1]
	v_mov_b32_e32 v31, v29
	v_pk_add_f32 v[28:29], v[40:41], v[30:31] neg_lo:[0,1] neg_hi:[0,1]
	v_pk_add_f32 v[6:7], v[0:1], v[52:53] neg_lo:[0,1] neg_hi:[0,1]
	v_pk_fma_f32 v[30:31], v[40:41], 2.0, v[28:29] op_sel_hi:[1,0,1] neg_lo:[0,0,1] neg_hi:[0,0,1]
	v_pk_fma_f32 v[40:41], v[34:35], v[12:13], v[32:33] op_sel:[0,0,1] op_sel_hi:[1,1,0] neg_lo:[0,0,1] neg_hi:[0,0,1]
	v_pk_fma_f32 v[12:13], v[34:35], v[12:13], v[32:33] op_sel:[0,0,1] op_sel_hi:[1,0,0]
	s_waitcnt vmcnt(0)
	v_pk_mul_f32 v[34:35], v[36:37], v[10:11] op_sel:[0,1]
	v_mov_b32_e32 v41, v13
	v_pk_add_f32 v[12:13], v[38:39], v[40:41] neg_lo:[0,1] neg_hi:[0,1]
	v_mov_b32_e32 v51, v15
	v_pk_fma_f32 v[32:33], v[38:39], 2.0, v[12:13] op_sel_hi:[1,0,1] neg_lo:[0,0,1] neg_hi:[0,0,1]
	v_pk_fma_f32 v[38:39], v[36:37], v[10:11], v[34:35] op_sel:[0,0,1] op_sel_hi:[1,1,0] neg_lo:[0,0,1] neg_hi:[0,0,1]
	v_pk_fma_f32 v[10:11], v[36:37], v[10:11], v[34:35] op_sel:[0,0,1] op_sel_hi:[1,0,0]
	v_mov_b32_e32 v27, v25
	v_mov_b32_e32 v39, v11
	v_pk_fma_f32 v[0:1], v[0:1], 2.0, v[6:7] op_sel_hi:[1,0,1] neg_lo:[0,0,1] neg_hi:[0,0,1]
	v_pk_add_f32 v[14:15], v[2:3], v[50:51] neg_lo:[0,1] neg_hi:[0,1]
	v_pk_add_f32 v[24:25], v[46:47], v[26:27] neg_lo:[0,1] neg_hi:[0,1]
	;; [unrolled: 1-line block ×3, first 2 shown]
	v_pk_fma_f32 v[2:3], v[2:3], 2.0, v[14:15] op_sel_hi:[1,0,1] neg_lo:[0,0,1] neg_hi:[0,0,1]
	v_pk_fma_f32 v[4:5], v[4:5], 2.0, v[22:23] op_sel_hi:[1,0,1] neg_lo:[0,0,1] neg_hi:[0,0,1]
	;; [unrolled: 1-line block ×4, first 2 shown]
	ds_write_b64 v79, v[0:1]
	ds_write_b64 v79, v[6:7] offset:2856
	ds_write_b64 v18, v[34:35]
	ds_write_b64 v18, v[10:11] offset:2856
	;; [unrolled: 2-line block ×5, first 2 shown]
	ds_write2_b64 v19, v[2:3], v[4:5] offset0:127 offset1:178
	ds_write2_b64 v20, v[14:15], v[22:23] offset0:100 offset1:151
	s_waitcnt lgkmcnt(0)
	; wave barrier
	s_waitcnt lgkmcnt(0)
	ds_read_b64 v[6:7], v79
	v_lshlrev_b32_e32 v0, 3, v80
	v_sub_u32_e32 v8, 0, v0
	v_lshl_add_u64 v[0:1], v[80:81], 3, s[2:3]
                                        ; implicit-def: $vgpr5
                                        ; implicit-def: $vgpr2_vgpr3
	s_and_saveexec_b64 s[4:5], vcc
	s_xor_b64 s[4:5], exec, s[4:5]
	s_cbranch_execz .LBB0_23
; %bb.22:
	global_load_dwordx2 v[2:3], v[0:1], off
	ds_read_b64 v[4:5], v8 offset:5712
	v_mov_b32_e32 v11, 0.5
	v_mov_b32_e32 v12, v11
	s_waitcnt lgkmcnt(0)
	v_pk_add_f32 v[14:15], v[4:5], v[6:7]
	v_pk_add_f32 v[4:5], v[6:7], v[4:5] neg_lo:[0,1] neg_hi:[0,1]
	v_mov_b32_e32 v6, v15
	v_mov_b32_e32 v7, v4
	v_pk_mul_f32 v[6:7], v[6:7], 0.5 op_sel_hi:[1,0]
	s_waitcnt vmcnt(0)
	v_mov_b32_e32 v10, v3
	v_mov_b32_e32 v4, v7
	;; [unrolled: 1-line block ×4, first 2 shown]
	v_pk_mul_f32 v[4:5], v[10:11], v[4:5]
	v_pk_mul_f32 v[20:21], v[2:3], v[6:7] op_sel_hi:[0,1]
	v_pk_fma_f32 v[10:11], v[14:15], v[12:13], v[4:5]
	v_pk_fma_f32 v[12:13], v[14:15], v[12:13], v[4:5] neg_lo:[0,0,1] neg_hi:[0,0,1]
	v_pk_fma_f32 v[4:5], v[2:3], v[6:7], v[10:11] op_sel_hi:[0,1,1] neg_lo:[1,0,0] neg_hi:[1,0,0]
	v_pk_fma_f32 v[2:3], v[2:3], v[6:7], v[12:13] op_sel_hi:[0,1,1] neg_lo:[1,0,0] neg_hi:[1,0,0]
	v_add_f32_e32 v4, v10, v20
                                        ; implicit-def: $vgpr6_vgpr7
.LBB0_23:
	s_andn2_saveexec_b64 s[4:5], s[4:5]
	s_cbranch_execz .LBB0_25
; %bb.24:
	s_waitcnt lgkmcnt(0)
	v_mov_b32_e32 v2, v7
	v_pk_add_f32 v[2:3], v[6:7], v[2:3] neg_lo:[0,1] neg_hi:[0,1]
	v_add_f32_e32 v4, v7, v6
	v_mov_b32_e32 v3, 0
	ds_read_b32 v5, v3 offset:2860
	s_waitcnt lgkmcnt(0)
	v_xor_b32_e32 v5, 0x80000000, v5
	ds_write_b32 v3, v5 offset:2860
	v_mov_b32_e32 v5, v3
.LBB0_25:
	s_or_b64 exec, exec, s[4:5]
	s_waitcnt lgkmcnt(0)
	v_lshl_add_u64 v[6:7], v[88:89], 3, s[2:3]
	global_load_dwordx2 v[6:7], v[6:7], off
	v_lshl_add_u64 v[10:11], v[90:91], 3, s[2:3]
	global_load_dwordx2 v[10:11], v[10:11], off
	;; [unrolled: 2-line block ×4, first 2 shown]
	ds_write_b64 v79, v[4:5]
	ds_write_b64 v8, v[2:3] offset:5712
	ds_read_b64 v[2:3], v18
	ds_read_b64 v[4:5], v8 offset:5304
	global_load_dwordx2 v[22:23], v[0:1], off offset:2040
	v_mov_b32_e32 v21, 0.5
	v_mov_b32_e32 v24, v21
	s_waitcnt lgkmcnt(0)
	v_pk_add_f32 v[26:27], v[2:3], v[4:5]
	v_pk_add_f32 v[2:3], v[2:3], v[4:5] neg_lo:[0,1] neg_hi:[0,1]
	v_mov_b32_e32 v4, v27
	v_mov_b32_e32 v5, v2
	v_pk_mul_f32 v[4:5], v[4:5], 0.5 op_sel_hi:[1,0]
	s_waitcnt vmcnt(4)
	v_mov_b32_e32 v25, v7
	v_mov_b32_e32 v27, v4
	;; [unrolled: 1-line block ×4, first 2 shown]
	v_pk_mul_f32 v[24:25], v[26:27], v[24:25]
	s_nop 0
	v_pk_fma_f32 v[26:27], v[20:21], v[2:3], v[24:25] neg_lo:[1,0,0] neg_hi:[1,0,0]
	v_pk_fma_f32 v[2:3], v[20:21], v[2:3], v[24:25]
	v_pk_fma_f32 v[24:25], v[6:7], v[4:5], v[26:27] op_sel_hi:[0,1,1] neg_lo:[1,0,0] neg_hi:[1,0,0]
	v_pk_fma_f32 v[26:27], v[6:7], v[4:5], v[2:3] op_sel_hi:[0,1,1]
	v_pk_fma_f32 v[2:3], v[6:7], v[4:5], v[2:3] op_sel_hi:[0,1,1] neg_lo:[1,0,0] neg_hi:[1,0,0]
	v_mov_b32_e32 v27, v3
	ds_write_b64 v18, v[26:27]
	ds_write_b64 v8, v[24:25] offset:5304
	ds_read_b64 v[2:3], v17
	ds_read_b64 v[4:5], v8 offset:4896
	global_load_dwordx2 v[0:1], v[0:1], off offset:2448
	v_mov_b32_e32 v6, v21
	s_waitcnt vmcnt(4)
	v_mov_b32_e32 v7, v11
	v_mov_b32_e32 v20, v11
	s_waitcnt lgkmcnt(0)
	v_pk_add_f32 v[18:19], v[2:3], v[4:5]
	v_pk_add_f32 v[2:3], v[2:3], v[4:5] neg_lo:[0,1] neg_hi:[0,1]
	v_mov_b32_e32 v4, v19
	v_mov_b32_e32 v5, v2
	v_pk_mul_f32 v[4:5], v[4:5], 0.5 op_sel_hi:[1,0]
	s_nop 0
	v_mov_b32_e32 v19, v4
	v_mov_b32_e32 v2, v5
	v_pk_mul_f32 v[6:7], v[18:19], v[6:7]
	s_nop 0
	v_pk_fma_f32 v[18:19], v[20:21], v[2:3], v[6:7] neg_lo:[1,0,0] neg_hi:[1,0,0]
	v_pk_fma_f32 v[2:3], v[20:21], v[2:3], v[6:7]
	v_pk_fma_f32 v[6:7], v[10:11], v[4:5], v[18:19] op_sel_hi:[0,1,1] neg_lo:[1,0,0] neg_hi:[1,0,0]
	v_pk_fma_f32 v[18:19], v[10:11], v[4:5], v[2:3] op_sel_hi:[0,1,1]
	v_pk_fma_f32 v[2:3], v[10:11], v[4:5], v[2:3] op_sel_hi:[0,1,1] neg_lo:[1,0,0] neg_hi:[1,0,0]
	v_mov_b32_e32 v19, v3
	ds_write_b64 v17, v[18:19]
	ds_write_b64 v8, v[6:7] offset:4896
	ds_read_b64 v[2:3], v9
	ds_read_b64 v[4:5], v8 offset:4488
	v_mov_b32_e32 v6, v21
	s_waitcnt vmcnt(3)
	v_mov_b32_e32 v7, v13
	v_mov_b32_e32 v20, v13
	s_waitcnt lgkmcnt(0)
	v_pk_add_f32 v[10:11], v[2:3], v[4:5]
	v_pk_add_f32 v[2:3], v[2:3], v[4:5] neg_lo:[0,1] neg_hi:[0,1]
	v_mov_b32_e32 v4, v11
	v_mov_b32_e32 v5, v2
	v_pk_mul_f32 v[4:5], v[4:5], 0.5 op_sel_hi:[1,0]
	s_nop 0
	v_mov_b32_e32 v11, v4
	v_mov_b32_e32 v2, v5
	v_pk_mul_f32 v[6:7], v[10:11], v[6:7]
	s_nop 0
	v_pk_fma_f32 v[10:11], v[20:21], v[2:3], v[6:7] neg_lo:[1,0,0] neg_hi:[1,0,0]
	v_pk_fma_f32 v[2:3], v[20:21], v[2:3], v[6:7]
	v_pk_fma_f32 v[6:7], v[12:13], v[4:5], v[10:11] op_sel_hi:[0,1,1] neg_lo:[1,0,0] neg_hi:[1,0,0]
	v_pk_fma_f32 v[10:11], v[12:13], v[4:5], v[2:3] op_sel_hi:[0,1,1]
	v_pk_fma_f32 v[2:3], v[12:13], v[4:5], v[2:3] op_sel_hi:[0,1,1] neg_lo:[1,0,0] neg_hi:[1,0,0]
	v_mov_b32_e32 v11, v3
	ds_write_b64 v9, v[10:11]
	ds_write_b64 v8, v[6:7] offset:4488
	ds_read_b64 v[2:3], v16
	ds_read_b64 v[4:5], v8 offset:4080
	v_mov_b32_e32 v6, v21
	s_waitcnt vmcnt(2)
	v_mov_b32_e32 v7, v15
	v_mov_b32_e32 v20, v15
	s_waitcnt lgkmcnt(0)
	v_pk_add_f32 v[10:11], v[2:3], v[4:5]
	v_pk_add_f32 v[2:3], v[2:3], v[4:5] neg_lo:[0,1] neg_hi:[0,1]
	v_mov_b32_e32 v4, v11
	v_mov_b32_e32 v5, v2
	v_pk_mul_f32 v[4:5], v[4:5], 0.5 op_sel_hi:[1,0]
	s_nop 0
	v_mov_b32_e32 v11, v4
	v_mov_b32_e32 v2, v5
	v_pk_mul_f32 v[6:7], v[10:11], v[6:7]
	s_nop 0
	v_pk_fma_f32 v[10:11], v[20:21], v[2:3], v[6:7] neg_lo:[1,0,0] neg_hi:[1,0,0]
	v_pk_fma_f32 v[2:3], v[20:21], v[2:3], v[6:7]
	v_pk_fma_f32 v[6:7], v[14:15], v[4:5], v[10:11] op_sel_hi:[0,1,1] neg_lo:[1,0,0] neg_hi:[1,0,0]
	v_pk_fma_f32 v[10:11], v[14:15], v[4:5], v[2:3] op_sel_hi:[0,1,1]
	v_pk_fma_f32 v[2:3], v[14:15], v[4:5], v[2:3] op_sel_hi:[0,1,1] neg_lo:[1,0,0] neg_hi:[1,0,0]
	v_mov_b32_e32 v11, v3
	ds_write_b64 v16, v[10:11]
	ds_write_b64 v8, v[6:7] offset:4080
	ds_read_b64 v[2:3], v79 offset:2040
	ds_read_b64 v[4:5], v8 offset:3672
	v_mov_b32_e32 v6, v21
	s_waitcnt vmcnt(1)
	v_mov_b32_e32 v7, v23
	v_mov_b32_e32 v20, v23
	s_waitcnt lgkmcnt(0)
	v_pk_add_f32 v[10:11], v[2:3], v[4:5]
	v_pk_add_f32 v[2:3], v[2:3], v[4:5] neg_lo:[0,1] neg_hi:[0,1]
	v_mov_b32_e32 v4, v11
	v_mov_b32_e32 v5, v2
	v_pk_mul_f32 v[4:5], v[4:5], 0.5 op_sel_hi:[1,0]
	s_nop 0
	v_mov_b32_e32 v11, v4
	v_mov_b32_e32 v2, v5
	v_pk_mul_f32 v[6:7], v[10:11], v[6:7]
	s_nop 0
	v_pk_fma_f32 v[10:11], v[20:21], v[2:3], v[6:7] neg_lo:[1,0,0] neg_hi:[1,0,0]
	v_pk_fma_f32 v[2:3], v[20:21], v[2:3], v[6:7]
	v_pk_fma_f32 v[6:7], v[22:23], v[4:5], v[10:11] op_sel_hi:[0,1,1] neg_lo:[1,0,0] neg_hi:[1,0,0]
	v_pk_fma_f32 v[10:11], v[22:23], v[4:5], v[2:3] op_sel_hi:[0,1,1]
	v_pk_fma_f32 v[2:3], v[22:23], v[4:5], v[2:3] op_sel_hi:[0,1,1] neg_lo:[1,0,0] neg_hi:[1,0,0]
	v_mov_b32_e32 v11, v3
	ds_write_b64 v79, v[10:11] offset:2040
	ds_write_b64 v8, v[6:7] offset:3672
	ds_read_b64 v[2:3], v79 offset:2448
	ds_read_b64 v[4:5], v8 offset:3264
	v_mov_b32_e32 v6, v21
	s_waitcnt vmcnt(0)
	v_mov_b32_e32 v7, v1
	v_mov_b32_e32 v20, v1
	s_waitcnt lgkmcnt(0)
	v_pk_add_f32 v[10:11], v[2:3], v[4:5]
	v_pk_add_f32 v[2:3], v[2:3], v[4:5] neg_lo:[0,1] neg_hi:[0,1]
	v_mov_b32_e32 v4, v11
	v_mov_b32_e32 v5, v2
	v_pk_mul_f32 v[4:5], v[4:5], 0.5 op_sel_hi:[1,0]
	s_nop 0
	v_mov_b32_e32 v11, v4
	v_mov_b32_e32 v2, v5
	v_pk_mul_f32 v[6:7], v[10:11], v[6:7]
	s_nop 0
	v_pk_fma_f32 v[10:11], v[20:21], v[2:3], v[6:7] neg_lo:[1,0,0] neg_hi:[1,0,0]
	v_pk_fma_f32 v[2:3], v[20:21], v[2:3], v[6:7]
	v_pk_fma_f32 v[6:7], v[0:1], v[4:5], v[10:11] op_sel_hi:[0,1,1] neg_lo:[1,0,0] neg_hi:[1,0,0]
	v_pk_fma_f32 v[10:11], v[0:1], v[4:5], v[2:3] op_sel_hi:[0,1,1]
	v_pk_fma_f32 v[0:1], v[0:1], v[4:5], v[2:3] op_sel_hi:[0,1,1] neg_lo:[1,0,0] neg_hi:[1,0,0]
	v_mov_b32_e32 v11, v1
	ds_write_b64 v79, v[10:11] offset:2448
	ds_write_b64 v8, v[6:7] offset:3264
	s_waitcnt lgkmcnt(0)
	; wave barrier
	s_waitcnt lgkmcnt(0)
	s_and_saveexec_b64 s[2:3], s[0:1]
	s_cbranch_execz .LBB0_28
; %bb.26:
	ds_read2_b64 v[0:3], v79 offset1:51
	ds_read2_b64 v[4:7], v79 offset0:102 offset1:153
	v_lshl_add_u64 v[12:13], v[80:81], 3, v[82:83]
	ds_read2_b64 v[8:11], v79 offset0:204 offset1:255
	s_waitcnt lgkmcnt(2)
	global_store_dwordx2 v[12:13], v[0:1], off
	global_store_dwordx2 v[12:13], v[2:3], off offset:408
	s_waitcnt lgkmcnt(1)
	global_store_dwordx2 v[12:13], v[4:5], off offset:816
	global_store_dwordx2 v[12:13], v[6:7], off offset:1224
	s_waitcnt lgkmcnt(0)
	global_store_dwordx2 v[12:13], v[8:9], off offset:1632
	v_add_u32_e32 v4, 0x800, v79
	ds_read2_b64 v[0:3], v4 offset0:50 offset1:101
	ds_read2_b64 v[4:7], v4 offset0:152 offset1:203
	v_add_u32_e32 v8, 0xc00, v79
	global_store_dwordx2 v[12:13], v[10:11], off offset:2040
	ds_read2_b64 v[8:11], v8 offset0:126 offset1:177
	s_waitcnt lgkmcnt(2)
	global_store_dwordx2 v[12:13], v[0:1], off offset:2448
	global_store_dwordx2 v[12:13], v[2:3], off offset:2856
	s_waitcnt lgkmcnt(1)
	global_store_dwordx2 v[12:13], v[4:5], off offset:3264
	global_store_dwordx2 v[12:13], v[6:7], off offset:3672
	s_waitcnt lgkmcnt(0)
	global_store_dwordx2 v[12:13], v[8:9], off offset:4080
	v_add_u32_e32 v0, 0x1000, v79
	ds_read2_b64 v[0:3], v0 offset0:100 offset1:151
	v_add_co_u32_e32 v4, vcc, 0x1000, v12
	s_nop 1
	v_addc_co_u32_e32 v5, vcc, 0, v13, vcc
	v_cmp_eq_u32_e32 vcc, 50, v80
	global_store_dwordx2 v[4:5], v[10:11], off offset:392
	s_waitcnt lgkmcnt(0)
	global_store_dwordx2 v[4:5], v[0:1], off offset:800
	global_store_dwordx2 v[4:5], v[2:3], off offset:1208
	s_and_b64 exec, exec, vcc
	s_cbranch_execz .LBB0_28
; %bb.27:
	v_mov_b32_e32 v0, 0
	ds_read_b64 v[0:1], v0 offset:5712
	v_add_co_u32_e32 v2, vcc, 0x1000, v82
	s_nop 1
	v_addc_co_u32_e32 v3, vcc, 0, v83, vcc
	s_waitcnt lgkmcnt(0)
	global_store_dwordx2 v[2:3], v[0:1], off offset:1616
.LBB0_28:
	s_endpgm
	.section	.rodata,"a",@progbits
	.p2align	6, 0x0
	.amdhsa_kernel fft_rtc_fwd_len714_factors_3_17_7_2_wgs_51_tpt_51_halfLds_sp_ip_CI_unitstride_sbrr_R2C_dirReg
		.amdhsa_group_segment_fixed_size 0
		.amdhsa_private_segment_fixed_size 0
		.amdhsa_kernarg_size 88
		.amdhsa_user_sgpr_count 2
		.amdhsa_user_sgpr_dispatch_ptr 0
		.amdhsa_user_sgpr_queue_ptr 0
		.amdhsa_user_sgpr_kernarg_segment_ptr 1
		.amdhsa_user_sgpr_dispatch_id 0
		.amdhsa_user_sgpr_kernarg_preload_length 0
		.amdhsa_user_sgpr_kernarg_preload_offset 0
		.amdhsa_user_sgpr_private_segment_size 0
		.amdhsa_uses_dynamic_stack 0
		.amdhsa_enable_private_segment 0
		.amdhsa_system_sgpr_workgroup_id_x 1
		.amdhsa_system_sgpr_workgroup_id_y 0
		.amdhsa_system_sgpr_workgroup_id_z 0
		.amdhsa_system_sgpr_workgroup_info 0
		.amdhsa_system_vgpr_workitem_id 0
		.amdhsa_next_free_vgpr 292
		.amdhsa_next_free_sgpr 66
		.amdhsa_accum_offset 256
		.amdhsa_reserve_vcc 1
		.amdhsa_float_round_mode_32 0
		.amdhsa_float_round_mode_16_64 0
		.amdhsa_float_denorm_mode_32 3
		.amdhsa_float_denorm_mode_16_64 3
		.amdhsa_dx10_clamp 1
		.amdhsa_ieee_mode 1
		.amdhsa_fp16_overflow 0
		.amdhsa_tg_split 0
		.amdhsa_exception_fp_ieee_invalid_op 0
		.amdhsa_exception_fp_denorm_src 0
		.amdhsa_exception_fp_ieee_div_zero 0
		.amdhsa_exception_fp_ieee_overflow 0
		.amdhsa_exception_fp_ieee_underflow 0
		.amdhsa_exception_fp_ieee_inexact 0
		.amdhsa_exception_int_div_zero 0
	.end_amdhsa_kernel
	.text
.Lfunc_end0:
	.size	fft_rtc_fwd_len714_factors_3_17_7_2_wgs_51_tpt_51_halfLds_sp_ip_CI_unitstride_sbrr_R2C_dirReg, .Lfunc_end0-fft_rtc_fwd_len714_factors_3_17_7_2_wgs_51_tpt_51_halfLds_sp_ip_CI_unitstride_sbrr_R2C_dirReg
                                        ; -- End function
	.section	.AMDGPU.csdata,"",@progbits
; Kernel info:
; codeLenInByte = 12372
; NumSgprs: 72
; NumVgprs: 256
; NumAgprs: 36
; TotalNumVgprs: 292
; ScratchSize: 0
; MemoryBound: 0
; FloatMode: 240
; IeeeMode: 1
; LDSByteSize: 0 bytes/workgroup (compile time only)
; SGPRBlocks: 8
; VGPRBlocks: 36
; NumSGPRsForWavesPerEU: 72
; NumVGPRsForWavesPerEU: 292
; AccumOffset: 256
; Occupancy: 1
; WaveLimiterHint : 1
; COMPUTE_PGM_RSRC2:SCRATCH_EN: 0
; COMPUTE_PGM_RSRC2:USER_SGPR: 2
; COMPUTE_PGM_RSRC2:TRAP_HANDLER: 0
; COMPUTE_PGM_RSRC2:TGID_X_EN: 1
; COMPUTE_PGM_RSRC2:TGID_Y_EN: 0
; COMPUTE_PGM_RSRC2:TGID_Z_EN: 0
; COMPUTE_PGM_RSRC2:TIDIG_COMP_CNT: 0
; COMPUTE_PGM_RSRC3_GFX90A:ACCUM_OFFSET: 63
; COMPUTE_PGM_RSRC3_GFX90A:TG_SPLIT: 0
	.text
	.p2alignl 6, 3212836864
	.fill 256, 4, 3212836864
	.type	__hip_cuid_24630ff09b257c99,@object ; @__hip_cuid_24630ff09b257c99
	.section	.bss,"aw",@nobits
	.globl	__hip_cuid_24630ff09b257c99
__hip_cuid_24630ff09b257c99:
	.byte	0                               ; 0x0
	.size	__hip_cuid_24630ff09b257c99, 1

	.ident	"AMD clang version 19.0.0git (https://github.com/RadeonOpenCompute/llvm-project roc-6.4.0 25133 c7fe45cf4b819c5991fe208aaa96edf142730f1d)"
	.section	".note.GNU-stack","",@progbits
	.addrsig
	.addrsig_sym __hip_cuid_24630ff09b257c99
	.amdgpu_metadata
---
amdhsa.kernels:
  - .agpr_count:     36
    .args:
      - .actual_access:  read_only
        .address_space:  global
        .offset:         0
        .size:           8
        .value_kind:     global_buffer
      - .offset:         8
        .size:           8
        .value_kind:     by_value
      - .actual_access:  read_only
        .address_space:  global
        .offset:         16
        .size:           8
        .value_kind:     global_buffer
      - .actual_access:  read_only
        .address_space:  global
        .offset:         24
        .size:           8
        .value_kind:     global_buffer
      - .offset:         32
        .size:           8
        .value_kind:     by_value
      - .actual_access:  read_only
        .address_space:  global
        .offset:         40
        .size:           8
        .value_kind:     global_buffer
      - .actual_access:  read_only
        .address_space:  global
        .offset:         48
        .size:           8
        .value_kind:     global_buffer
      - .offset:         56
        .size:           4
        .value_kind:     by_value
      - .actual_access:  read_only
        .address_space:  global
        .offset:         64
        .size:           8
        .value_kind:     global_buffer
      - .actual_access:  read_only
        .address_space:  global
        .offset:         72
        .size:           8
        .value_kind:     global_buffer
      - .address_space:  global
        .offset:         80
        .size:           8
        .value_kind:     global_buffer
    .group_segment_fixed_size: 0
    .kernarg_segment_align: 8
    .kernarg_segment_size: 88
    .language:       OpenCL C
    .language_version:
      - 2
      - 0
    .max_flat_workgroup_size: 51
    .name:           fft_rtc_fwd_len714_factors_3_17_7_2_wgs_51_tpt_51_halfLds_sp_ip_CI_unitstride_sbrr_R2C_dirReg
    .private_segment_fixed_size: 0
    .sgpr_count:     72
    .sgpr_spill_count: 0
    .symbol:         fft_rtc_fwd_len714_factors_3_17_7_2_wgs_51_tpt_51_halfLds_sp_ip_CI_unitstride_sbrr_R2C_dirReg.kd
    .uniform_work_group_size: 1
    .uses_dynamic_stack: false
    .vgpr_count:     292
    .vgpr_spill_count: 0
    .wavefront_size: 64
amdhsa.target:   amdgcn-amd-amdhsa--gfx950
amdhsa.version:
  - 1
  - 2
...

	.end_amdgpu_metadata
